;; amdgpu-corpus repo=ROCm/aiter kind=harvested arch=n/a opt=n/a

/root/src/amdgpu-assembly/repos/ROCm__aiter/hsa/gfx950/bf16gemm/bf16gemm_fp32bf16_tn_160x64_bshuffle_splitk_clean.co:	file format elf64-amdgpu

Disassembly of section .text:

0000000000002a00 <_ZN5aiter49bf16gemm_fp32bf16_tn_160x64_bshuffle_splitk_cleanE>:
	s_mov_b32 s53, s4                                          // 000000002A00: BEB50004
	s_and_b32 s1, s1, 0xffff                                   // 000000002A04: 8601FF01 0000FFFF
	s_load_dword s25, s[0:1], 0xe0                             // 000000002A0C: C0020640 000000E0
	s_load_dword s26, s[0:1], 0xf0                             // 000000002A14: C0020680 000000F0
	s_load_dword s27, s[0:1], 0x100                            // 000000002A1C: C00206C0 00000100
	s_load_dword s28, s[0:1], 0xa0                             // 000000002A24: C0020700 000000A0
	s_load_dword s29, s[0:1], 0xc0                             // 000000002A2C: C0020740 000000C0
	s_load_dword s30, s[0:1], 0x80                             // 000000002A34: C0020780 00000080
	s_load_dword s20, s[0:1], 0x40                             // 000000002A3C: C0020500 00000040
	s_load_dword s21, s[0:1], 0x50                             // 000000002A44: C0020540 00000050
	s_load_dwordx2 s[4:5], s[0:1], 0x20                        // 000000002A4C: C0060100 00000020
	s_load_dwordx2 s[8:9], s[0:1], 0x30                        // 000000002A54: C0060200 00000030
	s_load_dwordx2 s[12:13], s[0:1], 0x10                      // 000000002A5C: C0060300 00000010
	s_load_dwordx2 s[16:17], s[0:1], 0x0                       // 000000002A64: C0060400 00000000
	s_load_dword s52, s[0:1], 0x110                            // 000000002A6C: C0020D00 00000110
	s_load_dword s54, s[0:1], 0x120                            // 000000002A74: C0020D80 00000120
	s_load_dwordx2 s[36:37], s[0:1], 0x130                     // 000000002A7C: C0060900 00000130
	s_load_dword s61, s[0:1], 0x140                            // 000000002A84: C0020F40 00000140
	s_load_dwordx2 s[40:41], s[0:1], 0x150                     // 000000002A8C: C0060A00 00000150
	v_lshrrev_b32_e32 v1, 10, v0                               // 000000002A94: 2002008A
	v_lshrrev_b32_e32 v2, 10, v1                               // 000000002A98: 2004028A
	v_and_b32_e32 v2, 0x3ff, v2                                // 000000002A9C: 260404FF 000003FF
	v_and_b32_e32 v1, 0x3ff, v1                                // 000000002AA4: 260202FF 000003FF
	v_and_b32_e32 v0, 0x3ff, v0                                // 000000002AAC: 260000FF 000003FF
	v_lshrrev_b32_e32 v3, 6, v0                                // 000000002AB4: 20060086
	v_and_b32_e32 v0, 63, v0                                   // 000000002AB8: 260000BF
	s_mov_b32 s22, s2                                          // 000000002ABC: BE960002
	s_mov_b32 s23, s3                                          // 000000002AC0: BE970003
	v_readfirstlane_b32 s24, v3                                // 000000002AC4: 7E300503
	s_waitcnt lgkmcnt(0)                                       // 000000002AC8: BF8CC07F
	s_mov_b32 s18, -16                                         // 000000002ACC: BE9200D0
	s_mov_b32 s14, -16                                         // 000000002AD0: BE8E00D0
	s_mov_b32 s10, -16                                         // 000000002AD4: BE8A00D0
	s_mov_b32 s6, -16                                          // 000000002AD8: BE8600D0
	s_mov_b32 s38, -16                                         // 000000002ADC: BEA600D0
	s_mov_b32 s19, 0x20000                                     // 000000002AE0: BE9300FF 00020000
	s_mov_b32 s15, 0x20000                                     // 000000002AE8: BE8F00FF 00020000
	s_mov_b32 s11, 0x20000                                     // 000000002AF0: BE8B00FF 00020000
	s_mov_b32 s7, 0x20000                                      // 000000002AF8: BE8700FF 00020000
	s_mov_b32 s39, 0x20000                                     // 000000002B00: BEA700FF 00020000
	s_and_b32 s17, s17, 0xffff                                 // 000000002B08: 8611FF11 0000FFFF
	s_and_b32 s13, s13, 0xffff                                 // 000000002B10: 860DFF0D 0000FFFF
	s_and_b32 s9, s9, 0xffff                                   // 000000002B18: 8609FF09 0000FFFF
	s_and_b32 s5, s5, 0xffff                                   // 000000002B20: 8605FF05 0000FFFF
	s_and_b32 s37, s37, 0xffff                                 // 000000002B28: 8625FF25 0000FFFF
	s_or_b32 s17, s17, 0x40000                                 // 000000002B30: 8711FF11 00040000
	s_or_b32 s13, s13, 0x40000                                 // 000000002B38: 870DFF0D 00040000
	s_or_b32 s9, s9, 0x40000                                   // 000000002B40: 8709FF09 00040000
	s_or_b32 s5, s5, 0x40000                                   // 000000002B48: 8705FF05 00040000
	s_or_b32 s37, s37, 0x40000                                 // 000000002B50: 8725FF25 00040000
	s_add_u32 s31, s26, 63                                     // 000000002B58: 801FBF1A
	s_lshr_b32 s31, s31, 6                                     // 000000002B5C: 8F1F861F
	s_mul_i32 s62, s23, s31                                    // 000000002B60: 923E1F17
	s_add_u32 s62, s62, s22                                    // 000000002B64: 803E163E
	s_lshl_b32 s62, s62, 2                                     // 000000002B68: 8E3E823E
	s_cmp_eq_u32 s53, 0                                        // 000000002B6C: BF068035
	s_cbranch_scc0 label_005F                                  // 000000002B70: BF840002
	s_load_dword s63, s[40:41], s62 glc                        // 000000002B74: C0010FD4 0000003E

0000000000002b7c <label_005F>:
	s_mov_b32 s35, 0x7060302                                   // 000000002B7C: BEA300FF 07060302
	v_mov_b32_e32 v9, 0xffff0000                               // 000000002B84: 7E1202FF FFFF0000
	v_mov_b32_e32 v10, 0x7fff0000                              // 000000002B8C: 7E1402FF 7FFF0000
	v_mov_b32_e32 v11, 0x7fff                                  // 000000002B94: 7E1602FF 00007FFF
	s_mul_i32 s31, s30, s25                                    // 000000002B9C: 921F191E
	s_mov_b32 s18, s31                                         // 000000002BA0: BE92001F
	s_cmp_lt_u32 s54, 1                                        // 000000002BA4: BF0A8136
	s_cbranch_scc0 label_008F                                  // 000000002BA8: BF840024
	v_and_b32_e64 v12, v0, 15                                  // 000000002BAC: D113000C 00011F00
	v_mul_lo_u32 v12, v12, s30                                 // 000000002BB4: D285000C 00003D0C
	v_lshrrev_b32_e32 v4, 4, v0                                // 000000002BBC: 20080084
	v_mul_i32_i24_e32 v4, 16, v4                               // 000000002BC0: 0C080890
	v_add_u32_e32 v12, v4, v12                                 // 000000002BC4: 68181904
	s_mul_i32 s31, s23, 0xa0                                   // 000000002BC8: 921FFF17 000000A0
	s_mul_i32 s31, s31, s30                                    // 000000002BD0: 921F1E1F
	v_add_u32_e32 v12, s31, v12                                // 000000002BD4: 6818181F
	s_mul_i32 s31, s22, 64                                     // 000000002BD8: 921FC016
	s_mul_i32 s31, s31, 4                                      // 000000002BDC: 921F841F
	v_add_u32_e32 v12, s31, v12                                // 000000002BE0: 6818181F
	s_mul_i32 s31, 64, s24                                     // 000000002BE4: 921F18C0
	v_add_u32_e32 v12, s31, v12                                // 000000002BE8: 6818181F
	s_mul_i32 s31, 16, s30                                     // 000000002BEC: 921F1E90
	v_add_u32_e32 v13, s31, v12                                // 000000002BF0: 681A181F
	v_add_u32_e32 v14, s31, v13                                // 000000002BF4: 681C1A1F
	v_add_u32_e32 v15, s31, v14                                // 000000002BF8: 681E1C1F
	v_add_u32_e32 v16, s31, v15                                // 000000002BFC: 68201E1F
	v_add_u32_e32 v17, s31, v16                                // 000000002C00: 6822201F
	v_add_u32_e32 v18, s31, v17                                // 000000002C04: 6824221F
	v_add_u32_e32 v19, s31, v18                                // 000000002C08: 6826241F
	v_add_u32_e32 v20, s31, v19                                // 000000002C0C: 6828261F
	v_add_u32_e32 v21, s31, v20                                // 000000002C10: 682A281F
	s_mul_i32 s31, s23, 0xa0                                   // 000000002C14: 921FFF17 000000A0
	s_add_i32 s31, s31, s24                                    // 000000002C1C: 811F181F
	s_mul_i32 s31, s31, s30                                    // 000000002C20: 921F1E1F
	s_mul_i32 s32, s22, 64                                     // 000000002C24: 9220C016
	s_mul_i32 s32, s32, 4                                      // 000000002C28: 92208420
	s_add_i32 s31, s31, s32                                    // 000000002C2C: 811F201F
	v_lshlrev_b32_e32 v22, 2, v0                               // 000000002C30: 242C0082
	v_add_u32_e32 v22, s31, v22                                // 000000002C34: 682C2C1F
	s_branch label_00B8                                        // 000000002C38: BF820029

0000000000002c3c <label_008F>:
	v_and_b32_e64 v12, v0, 15                                  // 000000002C3C: D113000C 00011F00
	v_mul_lo_u32 v12, v12, s30                                 // 000000002C44: D285000C 00003D0C
	v_lshrrev_b32_e32 v4, 4, v0                                // 000000002C4C: 20080084
	v_mul_i32_i24_e32 v4, 8, v4                                // 000000002C50: 0C080888
	v_add_u32_e32 v12, v4, v12                                 // 000000002C54: 68181904
	s_mul_i32 s31, s23, 0xa0                                   // 000000002C58: 921FFF17 000000A0
	s_mul_i32 s31, s31, s30                                    // 000000002C60: 921F1E1F
	v_add_u32_e32 v12, s31, v12                                // 000000002C64: 6818181F
	s_mul_i32 s31, s22, 64                                     // 000000002C68: 921FC016
	s_mul_i32 s31, s31, 2                                      // 000000002C6C: 921F821F
	v_add_u32_e32 v12, s31, v12                                // 000000002C70: 6818181F
	s_mul_i32 s31, 32, s24                                     // 000000002C74: 921F18A0
	v_add_u32_e32 v12, s31, v12                                // 000000002C78: 6818181F
	s_mul_i32 s31, 16, s30                                     // 000000002C7C: 921F1E90
	v_add_u32_e32 v13, s31, v12                                // 000000002C80: 681A181F
	v_add_u32_e32 v14, s31, v13                                // 000000002C84: 681C1A1F
	v_add_u32_e32 v15, s31, v14                                // 000000002C88: 681E1C1F
	v_add_u32_e32 v16, s31, v15                                // 000000002C8C: 68201E1F
	v_add_u32_e32 v17, s31, v16                                // 000000002C90: 6822201F
	v_add_u32_e32 v18, s31, v17                                // 000000002C94: 6824221F
	v_add_u32_e32 v19, s31, v18                                // 000000002C98: 6826241F
	v_add_u32_e32 v20, s31, v19                                // 000000002C9C: 6828261F
	v_add_u32_e32 v21, s31, v20                                // 000000002CA0: 682A281F
	s_mul_i32 s31, s23, 0xa0                                   // 000000002CA4: 921FFF17 000000A0
	s_add_i32 s31, s31, s24                                    // 000000002CAC: 811F181F
	s_mul_i32 s31, s31, s30                                    // 000000002CB0: 921F1E1F
	s_mul_i32 s32, s22, 64                                     // 000000002CB4: 9220C016
	s_mul_i32 s32, s32, 2                                      // 000000002CB8: 92208220
	s_add_i32 s31, s31, s32                                    // 000000002CBC: 811F201F
	v_lshrrev_b32_e32 v4, 5, v0                                // 000000002CC0: 20080085
	s_mul_i32 s32, s30, 4                                      // 000000002CC4: 9220841E
	v_mul_lo_u32 v4, v4, s32                                   // 000000002CC8: D2850004 00004104
	v_and_b32_e32 v5, 31, v0                                   // 000000002CD0: 260A009F
	v_lshlrev_b32_e32 v5, 2, v5                                // 000000002CD4: 240A0A82
	v_add_u32_e32 v22, v4, v5                                  // 000000002CD8: 682C0B04
	v_add_u32_e32 v22, s31, v22                                // 000000002CDC: 682C2C1F

0000000000002ce0 <label_00B8>:
	s_cmp_eq_u32 s53, 0                                        // 000000002CE0: BF068035
	s_cbranch_scc0 label_00F0                                  // 000000002CE4: BF840036
	s_mov_b32 s31, 0                                           // 000000002CE8: BE9F0080

0000000000002cec <label_00BB>:
	s_waitcnt lgkmcnt(0)                                       // 000000002CEC: BF8CC07F
	s_cmp_eq_u32 s63, s31                                      // 000000002CF0: BF061F3F
	s_cbranch_scc1 label_00C1                                  // 000000002CF4: BF850003
	s_load_dword s63, s[40:41], s62 glc                        // 000000002CF8: C0010FD4 0000003E
	s_branch label_00BB                                        // 000000002D00: BF82FFFA

0000000000002d04 <label_00C1>:
	v_mov_b32_e32 v88, 0                                       // 000000002D04: 7EB00280
	v_mov_b32_e32 v89, 0                                       // 000000002D08: 7EB20280
	v_mov_b32_e32 v90, 0                                       // 000000002D0C: 7EB40280
	v_mov_b32_e32 v91, 0                                       // 000000002D10: 7EB60280
	s_cmp_lt_u32 s54, 1                                        // 000000002D14: BF0A8136
	s_cbranch_scc0 label_00DC                                  // 000000002D18: BF840015
	buffer_store_dwordx4 v[88:91], v12, s[16:19], 0 offen sc0 nt sc1// 000000002D1C: E07ED000 8004580C
	buffer_store_dwordx4 v[88:91], v13, s[16:19], 0 offen sc0 nt sc1// 000000002D24: E07ED000 8004580D
	buffer_store_dwordx4 v[88:91], v14, s[16:19], 0 offen sc0 nt sc1// 000000002D2C: E07ED000 8004580E
	buffer_store_dwordx4 v[88:91], v15, s[16:19], 0 offen sc0 nt sc1// 000000002D34: E07ED000 8004580F
	buffer_store_dwordx4 v[88:91], v16, s[16:19], 0 offen sc0 nt sc1// 000000002D3C: E07ED000 80045810
	buffer_store_dwordx4 v[88:91], v17, s[16:19], 0 offen sc0 nt sc1// 000000002D44: E07ED000 80045811
	buffer_store_dwordx4 v[88:91], v18, s[16:19], 0 offen sc0 nt sc1// 000000002D4C: E07ED000 80045812
	buffer_store_dwordx4 v[88:91], v19, s[16:19], 0 offen sc0 nt sc1// 000000002D54: E07ED000 80045813
	buffer_store_dwordx4 v[88:91], v20, s[16:19], 0 offen sc0 nt sc1// 000000002D5C: E07ED000 80045814
	buffer_store_dwordx4 v[88:91], v21, s[16:19], 0 offen sc0 nt sc1// 000000002D64: E07ED000 80045815
	s_branch label_00F0                                        // 000000002D6C: BF820014

0000000000002d70 <label_00DC>:
	buffer_store_dwordx2 v[88:89], v12, s[16:19], 0 offen sc0 nt sc1// 000000002D70: E076D000 8004580C
	buffer_store_dwordx2 v[88:89], v13, s[16:19], 0 offen sc0 nt sc1// 000000002D78: E076D000 8004580D
	buffer_store_dwordx2 v[88:89], v14, s[16:19], 0 offen sc0 nt sc1// 000000002D80: E076D000 8004580E
	buffer_store_dwordx2 v[88:89], v15, s[16:19], 0 offen sc0 nt sc1// 000000002D88: E076D000 8004580F
	buffer_store_dwordx2 v[88:89], v16, s[16:19], 0 offen sc0 nt sc1// 000000002D90: E076D000 80045810
	buffer_store_dwordx2 v[88:89], v17, s[16:19], 0 offen sc0 nt sc1// 000000002D98: E076D000 80045811
	buffer_store_dwordx2 v[88:89], v18, s[16:19], 0 offen sc0 nt sc1// 000000002DA0: E076D000 80045812
	buffer_store_dwordx2 v[88:89], v19, s[16:19], 0 offen sc0 nt sc1// 000000002DA8: E076D000 80045813
	buffer_store_dwordx2 v[88:89], v20, s[16:19], 0 offen sc0 nt sc1// 000000002DB0: E076D000 80045814
	buffer_store_dwordx2 v[88:89], v21, s[16:19], 0 offen sc0 nt sc1// 000000002DB8: E076D000 80045815

0000000000002dc0 <label_00F0>:
	s_mul_i32 s31, s28, s25                                    // 000000002DC0: 921F191C
	s_mov_b32 s6, s31                                          // 000000002DC4: BE86001F
	s_mov_b32 s44, 0x80                                        // 000000002DC8: BEAC00FF 00000080
	v_lshrrev_b32_e32 v4, 5, v0                                // 000000002DD0: 20080085
	v_lshlrev_b32_e32 v4, 2, v4                                // 000000002DD4: 24080882
	v_mul_lo_u32 v23, v4, s28                                  // 000000002DD8: D2850017 00003904
	v_and_b32_e32 v4, 31, v0                                   // 000000002DE0: 2608009F
	v_lshlrev_b32_e32 v4, 2, v4                                // 000000002DE4: 24080882
	v_add_u32_e32 v23, v23, v4                                 // 000000002DE8: 682E0917
	s_mul_i32 s31, 8, s28                                      // 000000002DEC: 921F1C88
	v_add_u32_e64 v24, v23, s31                                // 000000002DF0: D1340018 00003F17
	v_add_u32_e64 v25, v24, s31                                // 000000002DF8: D1340019 00003F18
	v_add_u32_e64 v26, v25, s31                                // 000000002E00: D134001A 00003F19
	v_add_u32_e64 v27, v26, s31                                // 000000002E08: D134001B 00003F1A
	v_add_u32_e64 v28, v27, s31                                // 000000002E10: D134001C 00003F1B
	v_add_u32_e64 v29, v28, s31                                // 000000002E18: D134001D 00003F1C
	v_add_u32_e64 v30, v29, s31                                // 000000002E20: D134001E 00003F1D
	v_add_u32_e64 v31, v30, s31                                // 000000002E28: D134001F 00003F1E
	v_add_u32_e64 v32, v31, s31                                // 000000002E30: D1340020 00003F1F
	v_add_u32_e64 v33, v32, s31                                // 000000002E38: D1340021 00003F20
	v_add_u32_e64 v34, v33, s31                                // 000000002E40: D1340022 00003F21
	v_add_u32_e64 v35, v34, s31                                // 000000002E48: D1340023 00003F22
	v_add_u32_e64 v36, v35, s31                                // 000000002E50: D1340024 00003F23
	v_add_u32_e64 v37, v36, s31                                // 000000002E58: D1340025 00003F24
	v_add_u32_e64 v38, v37, s31                                // 000000002E60: D1340026 00003F25
	v_add_u32_e64 v39, v38, s31                                // 000000002E68: D1340027 00003F26
	v_add_u32_e64 v40, v39, s31                                // 000000002E70: D1340028 00003F27
	v_add_u32_e64 v41, v40, s31                                // 000000002E78: D1340029 00003F28
	v_add_u32_e64 v42, v41, s31                                // 000000002E80: D134002A 00003F29
	s_mul_i32 s31, s23, 0xa0                                   // 000000002E88: 921FFF17 000000A0
	s_add_u32 s31, s31, s24                                    // 000000002E90: 801F181F
	s_mul_i32 s32, s31, s28                                    // 000000002E94: 92201C1F
	v_add_u32_e64 v23, v23, s32                                // 000000002E98: D1340017 00004117
	v_add_u32_e64 v24, v24, s32                                // 000000002EA0: D1340018 00004118
	v_add_u32_e64 v25, v25, s32                                // 000000002EA8: D1340019 00004119
	v_add_u32_e64 v26, v26, s32                                // 000000002EB0: D134001A 0000411A
	v_add_u32_e64 v27, v27, s32                                // 000000002EB8: D134001B 0000411B
	v_add_u32_e64 v28, v28, s32                                // 000000002EC0: D134001C 0000411C
	v_add_u32_e64 v29, v29, s32                                // 000000002EC8: D134001D 0000411D
	v_add_u32_e64 v30, v30, s32                                // 000000002ED0: D134001E 0000411E
	v_add_u32_e64 v31, v31, s32                                // 000000002ED8: D134001F 0000411F
	v_add_u32_e64 v32, v32, s32                                // 000000002EE0: D1340020 00004120
	v_add_u32_e64 v33, v33, s32                                // 000000002EE8: D1340021 00004121
	v_add_u32_e64 v34, v34, s32                                // 000000002EF0: D1340022 00004122
	v_add_u32_e64 v35, v35, s32                                // 000000002EF8: D1340023 00004123
	v_add_u32_e64 v36, v36, s32                                // 000000002F00: D1340024 00004124
	v_add_u32_e64 v37, v37, s32                                // 000000002F08: D1340025 00004125
	v_add_u32_e64 v38, v38, s32                                // 000000002F10: D1340026 00004126
	v_add_u32_e64 v39, v39, s32                                // 000000002F18: D1340027 00004127
	v_add_u32_e64 v40, v40, s32                                // 000000002F20: D1340028 00004128
	v_add_u32_e64 v41, v41, s32                                // 000000002F28: D1340029 00004129
	v_add_u32_e64 v42, v42, s32                                // 000000002F30: D134002A 0000412A
	v_lshrrev_b32_e32 v4, 4, v0                                // 000000002F38: 20080084
	v_lshlrev_b32_e32 v5, 2, v4                                // 000000002F3C: 240A0882
	v_and_b32_e32 v4, 15, v0                                   // 000000002F40: 2608008F
	v_lshrrev_b32_e32 v6, 2, v4                                // 000000002F44: 200C0882
	v_lshlrev_b32_e32 v6, 5, v6                                // 000000002F48: 240C0C85
	v_add_u32_e32 v5, v6, v5                                   // 000000002F4C: 680A0B06
	v_and_b32_e32 v4, 3, v0                                    // 000000002F50: 26080083
	v_mul_u32_u24_e32 v6, 0x508, v4                            // 000000002F54: 100C08FF 00000508
	v_add_u32_e32 v5, v6, v5                                   // 000000002F5C: 680A0B06
	v_lshlrev_b32_e32 v43, 2, v5                               // 000000002F60: 24560A82
	s_mul_i32 s31, s24, 0x1420                                 // 000000002F64: 921FFF18 00001420
	s_add_u32 s46, 0, s31                                      // 000000002F6C: 802E1F80
	s_add_u32 s47, 0x5080, s46                                 // 000000002F70: 802F2EFF 00005080
	s_add_u32 s48, 0x5080, s47                                 // 000000002F78: 80302FFF 00005080
	s_mul_i32 s31, s29, s26                                    // 000000002F80: 921F1A1D
	s_mov_b32 s10, s31                                         // 000000002F84: BE8A001F
	s_mov_b32 s45, 0x800                                       // 000000002F88: BEAD00FF 00000800
	v_lshlrev_b32_e32 v44, 4, v0                               // 000000002F90: 24580084
	s_mov_b32 s31, 0x400                                       // 000000002F94: BE9F00FF 00000400
	v_add_u32_e64 v45, v44, s31                                // 000000002F9C: D134002D 00003F2C
	s_mul_i32 s31, s22, 64                                     // 000000002FA4: 921FC016
	s_mul_i32 s32, 16, s24                                     // 000000002FA8: 92201890
	s_add_u32 s31, s31, s32                                    // 000000002FAC: 801F201F
	s_mul_i32 s32, s31, s29                                    // 000000002FB0: 92201D1F
	v_add_u32_e64 v44, v44, s32                                // 000000002FB4: D134002C 0000412C
	v_add_u32_e64 v45, v45, s32                                // 000000002FBC: D134002D 0000412D
	s_cmp_le_u32 s52, 1                                        // 000000002FC4: BF0B8134
	s_cbranch_scc1 label_01C9                                  // 000000002FC8: BF850056
	s_lshr_b32 s32, s27, 6                                     // 000000002FCC: 8F20861B
	v_cvt_f32_u32_e32 v4, s52                                  // 000000002FD0: 7E080C34
	s_sub_i32 s31, 0, s52                                      // 000000002FD4: 819F3480
	v_rcp_iflag_f32_e32 v4, v4                                 // 000000002FD8: 7E084704
	s_nop 0                                                    // 000000002FDC: BF800000
	v_mul_f32_e32 v4, 0x4f7ffffe, v4                           // 000000002FE0: 0A0808FF 4F7FFFFE
	v_cvt_u32_f32_e32 v4, v4                                   // 000000002FE8: 7E080F04
	v_mul_lo_u32 v5, s31, v4                                   // 000000002FEC: D2850005 0002081F
	v_mul_hi_u32 v5, v4, v5                                    // 000000002FF4: D2860005 00020B04
	v_add_u32_e32 v4, v4, v5                                   // 000000002FFC: 68080B04
	v_mul_hi_u32 v4, s32, v4                                   // 000000003000: D2860004 00020820
	v_mul_lo_u32 v5, v4, s52                                   // 000000003008: D2850005 00006904
	v_sub_u32_e32 v7, s32, v5                                  // 000000003010: 6A0E0A20
	v_add_u32_e32 v6, 1, v4                                    // 000000003014: 680C0881
	v_cmp_le_u32_e32 vcc, s52, v7                              // 000000003018: 7D960E34
	v_subrev_u32_e32 v5, s52, v7                               // 00000000301C: 6C0A0E34
	s_nop 0                                                    // 000000003020: BF800000
	v_cndmask_b32_e32 v4, v4, v6, vcc                          // 000000003024: 00080D04
	v_cndmask_b32_e32 v7, v7, v5, vcc                          // 000000003028: 000E0B07
	v_add_u32_e32 v5, 1, v4                                    // 00000000302C: 680A0881
	v_cmp_le_u32_e32 vcc, s52, v7                              // 000000003030: 7D960E34
	s_nop 1                                                    // 000000003034: BF800001
	v_cndmask_b32_e32 v7, v4, v5, vcc                          // 000000003038: 000E0B04
	s_nop 3                                                    // 00000000303C: BF800003
	v_readfirstlane_b32 s32, v7                                // 000000003040: 7E400507
	s_nop 3                                                    // 000000003044: BF800003
	s_mul_i32 s32, s32, 64                                     // 000000003048: 9220C020
	s_mul_i32 s31, s53, s32                                    // 00000000304C: 921F2035
	s_sub_i32 s56, s27, s31                                    // 000000003050: 81B81F1B
	s_sub_i32 s31, s52, 1                                      // 000000003054: 819F8134
	s_cmp_eq_i32 s53, s31                                      // 000000003058: BF001F35
	s_cselect_b32 s27, s56, s32                                // 00000000305C: 851B2038
	s_mul_i32 s31, s32, 2                                      // 000000003060: 921F8220
	s_mul_i32 s31, s31, s53                                    // 000000003064: 921F351F
	v_add_u32_e64 v23, v23, s31                                // 000000003068: D1340017 00003F17
	v_add_u32_e64 v24, v24, s31                                // 000000003070: D1340018 00003F18
	v_add_u32_e64 v25, v25, s31                                // 000000003078: D1340019 00003F19
	v_add_u32_e64 v26, v26, s31                                // 000000003080: D134001A 00003F1A
	v_add_u32_e64 v27, v27, s31                                // 000000003088: D134001B 00003F1B
	v_add_u32_e64 v28, v28, s31                                // 000000003090: D134001C 00003F1C
	v_add_u32_e64 v29, v29, s31                                // 000000003098: D134001D 00003F1D
	v_add_u32_e64 v30, v30, s31                                // 0000000030A0: D134001E 00003F1E
	v_add_u32_e64 v31, v31, s31                                // 0000000030A8: D134001F 00003F1F
	v_add_u32_e64 v32, v32, s31                                // 0000000030B0: D1340020 00003F20
	v_add_u32_e64 v33, v33, s31                                // 0000000030B8: D1340021 00003F21
	v_add_u32_e64 v34, v34, s31                                // 0000000030C0: D1340022 00003F22
	v_add_u32_e64 v35, v35, s31                                // 0000000030C8: D1340023 00003F23
	v_add_u32_e64 v36, v36, s31                                // 0000000030D0: D1340024 00003F24
	v_add_u32_e64 v37, v37, s31                                // 0000000030D8: D1340025 00003F25
	v_add_u32_e64 v38, v38, s31                                // 0000000030E0: D1340026 00003F26
	v_add_u32_e64 v39, v39, s31                                // 0000000030E8: D1340027 00003F27
	v_add_u32_e64 v40, v40, s31                                // 0000000030F0: D1340028 00003F28
	v_add_u32_e64 v41, v41, s31                                // 0000000030F8: D1340029 00003F29
	v_add_u32_e64 v42, v42, s31                                // 000000003100: D134002A 00003F2A
	s_mul_i32 s31, s32, 2                                      // 000000003108: 921F8220
	s_mul_i32 s31, s31, s53                                    // 00000000310C: 921F351F
	s_mul_i32 s31, s31, 16                                     // 000000003110: 921F901F
	v_add_u32_e64 v44, v44, s31                                // 000000003114: D134002C 00003F2C
	v_add_u32_e64 v45, v45, s31                                // 00000000311C: D134002D 00003F2D

0000000000003124 <label_01C9>:
	s_cmp_eq_u32 s61, 1                                        // 000000003124: BF06813D
	s_cbranch_scc0 label_0214                                  // 000000003128: BF840049
	s_cmp_eq_i32 s53, 0                                        // 00000000312C: BF008035
	s_cbranch_scc0 label_0214                                  // 000000003130: BF840047
	s_mul_i32 s31, 2, s26                                      // 000000003134: 921F1A82
	s_mov_b32 s38, s31                                         // 000000003138: BEA6001F
	v_lshrrev_b32_e32 v4, 4, v0                                // 00000000313C: 20080084
	v_mul_i32_i24_e32 v108, 8, v4                              // 000000003140: 0CD80888
	s_mul_i32 s31, 32, s24                                     // 000000003144: 921F18A0
	v_add_u32_e32 v108, s31, v108                              // 000000003148: 68D8D81F
	s_mul_i32 s32, s22, 64                                     // 00000000314C: 9220C016
	s_mul_i32 s32, s32, 2                                      // 000000003150: 92208220
	v_add_u32_e32 v108, s32, v108                              // 000000003154: 68D8D820
	v_mov_b32_e32 v110, 0                                      // 000000003158: 7EDC0280
	v_mov_b32_e32 v111, 0                                      // 00000000315C: 7EDE0280
	buffer_load_dwordx2 v[110:111], v108, s[36:39], 0 offen    // 000000003160: E0541000 80096E6C
	s_waitcnt vmcnt(0)                                         // 000000003168: BF8C0F70
	v_mov_b32_e32 v4, 0xffff0000                               // 00000000316C: 7E0802FF FFFF0000
	v_and_b32_e32 v4, v110, v4                                 // 000000003174: 2608096E
	v_mov_b32_e32 v5, 0xffff                                   // 000000003178: 7E0A02FF 0000FFFF
	v_and_b32_e32 v5, v110, v5                                 // 000000003180: 260A0B6E
	v_mov_b32_e32 v113, v4                                     // 000000003184: 7EE20304
	v_lshlrev_b32_e32 v112, 16, v5                             // 000000003188: 24E00A90
	v_mov_b32_e32 v4, 0xffff0000                               // 00000000318C: 7E0802FF FFFF0000
	v_and_b32_e32 v4, v111, v4                                 // 000000003194: 2608096F
	v_mov_b32_e32 v5, 0xffff                                   // 000000003198: 7E0A02FF 0000FFFF
	v_and_b32_e32 v5, v111, v5                                 // 0000000031A0: 260A0B6F
	v_mov_b32_e32 v115, v4                                     // 0000000031A4: 7EE60304
	v_lshlrev_b32_e32 v114, 16, v5                             // 0000000031A8: 24E40A90
	v_mov_b32_e32 v48, v112                                    // 0000000031AC: 7E600370
	v_mov_b32_e32 v49, v113                                    // 0000000031B0: 7E620371
	v_mov_b32_e32 v50, v114                                    // 0000000031B4: 7E640372
	v_mov_b32_e32 v51, v115                                    // 0000000031B8: 7E660373
	v_mov_b32_e32 v52, v112                                    // 0000000031BC: 7E680370
	v_mov_b32_e32 v53, v113                                    // 0000000031C0: 7E6A0371
	v_mov_b32_e32 v54, v114                                    // 0000000031C4: 7E6C0372
	v_mov_b32_e32 v55, v115                                    // 0000000031C8: 7E6E0373
	v_mov_b32_e32 v56, v112                                    // 0000000031CC: 7E700370
	v_mov_b32_e32 v57, v113                                    // 0000000031D0: 7E720371
	v_mov_b32_e32 v58, v114                                    // 0000000031D4: 7E740372
	v_mov_b32_e32 v59, v115                                    // 0000000031D8: 7E760373
	v_mov_b32_e32 v60, v112                                    // 0000000031DC: 7E780370
	v_mov_b32_e32 v61, v113                                    // 0000000031E0: 7E7A0371
	v_mov_b32_e32 v62, v114                                    // 0000000031E4: 7E7C0372
	v_mov_b32_e32 v63, v115                                    // 0000000031E8: 7E7E0373
	v_mov_b32_e32 v64, v112                                    // 0000000031EC: 7E800370
	v_mov_b32_e32 v65, v113                                    // 0000000031F0: 7E820371
	v_mov_b32_e32 v66, v114                                    // 0000000031F4: 7E840372
	v_mov_b32_e32 v67, v115                                    // 0000000031F8: 7E860373
	v_mov_b32_e32 v68, v112                                    // 0000000031FC: 7E880370
	v_mov_b32_e32 v69, v113                                    // 000000003200: 7E8A0371
	v_mov_b32_e32 v70, v114                                    // 000000003204: 7E8C0372
	v_mov_b32_e32 v71, v115                                    // 000000003208: 7E8E0373
	v_mov_b32_e32 v72, v112                                    // 00000000320C: 7E900370
	v_mov_b32_e32 v73, v113                                    // 000000003210: 7E920371
	v_mov_b32_e32 v74, v114                                    // 000000003214: 7E940372
	v_mov_b32_e32 v75, v115                                    // 000000003218: 7E960373
	v_mov_b32_e32 v76, v112                                    // 00000000321C: 7E980370
	v_mov_b32_e32 v77, v113                                    // 000000003220: 7E9A0371
	v_mov_b32_e32 v78, v114                                    // 000000003224: 7E9C0372
	v_mov_b32_e32 v79, v115                                    // 000000003228: 7E9E0373
	v_mov_b32_e32 v80, v112                                    // 00000000322C: 7EA00370
	v_mov_b32_e32 v81, v113                                    // 000000003230: 7EA20371
	v_mov_b32_e32 v82, v114                                    // 000000003234: 7EA40372
	v_mov_b32_e32 v83, v115                                    // 000000003238: 7EA60373
	v_mov_b32_e32 v84, v112                                    // 00000000323C: 7EA80370
	v_mov_b32_e32 v85, v113                                    // 000000003240: 7EAA0371
	v_mov_b32_e32 v86, v114                                    // 000000003244: 7EAC0372
	v_mov_b32_e32 v87, v115                                    // 000000003248: 7EAE0373
	s_branch label_023C                                        // 00000000324C: BF820028

0000000000003250 <label_0214>:
	v_mov_b32_e32 v48, 0                                       // 000000003250: 7E600280
	v_mov_b32_e32 v49, 0                                       // 000000003254: 7E620280
	v_mov_b32_e32 v50, 0                                       // 000000003258: 7E640280
	v_mov_b32_e32 v51, 0                                       // 00000000325C: 7E660280
	v_mov_b32_e32 v52, 0                                       // 000000003260: 7E680280
	v_mov_b32_e32 v53, 0                                       // 000000003264: 7E6A0280
	v_mov_b32_e32 v54, 0                                       // 000000003268: 7E6C0280
	v_mov_b32_e32 v55, 0                                       // 00000000326C: 7E6E0280
	v_mov_b32_e32 v56, 0                                       // 000000003270: 7E700280
	v_mov_b32_e32 v57, 0                                       // 000000003274: 7E720280
	v_mov_b32_e32 v58, 0                                       // 000000003278: 7E740280
	v_mov_b32_e32 v59, 0                                       // 00000000327C: 7E760280
	v_mov_b32_e32 v60, 0                                       // 000000003280: 7E780280
	v_mov_b32_e32 v61, 0                                       // 000000003284: 7E7A0280
	v_mov_b32_e32 v62, 0                                       // 000000003288: 7E7C0280
	v_mov_b32_e32 v63, 0                                       // 00000000328C: 7E7E0280
	v_mov_b32_e32 v64, 0                                       // 000000003290: 7E800280
	v_mov_b32_e32 v65, 0                                       // 000000003294: 7E820280
	v_mov_b32_e32 v66, 0                                       // 000000003298: 7E840280
	v_mov_b32_e32 v67, 0                                       // 00000000329C: 7E860280
	v_mov_b32_e32 v68, 0                                       // 0000000032A0: 7E880280
	v_mov_b32_e32 v69, 0                                       // 0000000032A4: 7E8A0280
	v_mov_b32_e32 v70, 0                                       // 0000000032A8: 7E8C0280
	v_mov_b32_e32 v71, 0                                       // 0000000032AC: 7E8E0280
	v_mov_b32_e32 v72, 0                                       // 0000000032B0: 7E900280
	v_mov_b32_e32 v73, 0                                       // 0000000032B4: 7E920280
	v_mov_b32_e32 v74, 0                                       // 0000000032B8: 7E940280
	v_mov_b32_e32 v75, 0                                       // 0000000032BC: 7E960280
	v_mov_b32_e32 v76, 0                                       // 0000000032C0: 7E980280
	v_mov_b32_e32 v77, 0                                       // 0000000032C4: 7E9A0280
	v_mov_b32_e32 v78, 0                                       // 0000000032C8: 7E9C0280
	v_mov_b32_e32 v79, 0                                       // 0000000032CC: 7E9E0280
	v_mov_b32_e32 v80, 0                                       // 0000000032D0: 7EA00280
	v_mov_b32_e32 v81, 0                                       // 0000000032D4: 7EA20280
	v_mov_b32_e32 v82, 0                                       // 0000000032D8: 7EA40280
	v_mov_b32_e32 v83, 0                                       // 0000000032DC: 7EA60280
	v_mov_b32_e32 v84, 0                                       // 0000000032E0: 7EA80280
	v_mov_b32_e32 v85, 0                                       // 0000000032E4: 7EAA0280
	v_mov_b32_e32 v86, 0                                       // 0000000032E8: 7EAC0280
	v_mov_b32_e32 v87, 0                                       // 0000000032EC: 7EAE0280

00000000000032f0 <label_023C>:
	s_add_u32 m0, 0, s46                                       // 0000000032F0: 807C2E80
	buffer_load_dword v23, s[4:7], 0 offen lds                 // 0000000032F4: E0511000 80010017
	s_add_u32 m0, 0x100, s46                                   // 0000000032FC: 807C2EFF 00000100
	buffer_load_dword v24, s[4:7], 0 offen lds                 // 000000003304: E0511000 80010018
	s_add_u32 m0, 0x200, s46                                   // 00000000330C: 807C2EFF 00000200
	buffer_load_dword v25, s[4:7], 0 offen lds                 // 000000003314: E0511000 80010019
	s_add_u32 m0, 0x300, s46                                   // 00000000331C: 807C2EFF 00000300
	buffer_load_dword v26, s[4:7], 0 offen lds                 // 000000003324: E0511000 8001001A
	s_add_u32 m0, 0x400, s46                                   // 00000000332C: 807C2EFF 00000400
	buffer_load_dword v27, s[4:7], 0 offen lds                 // 000000003334: E0511000 8001001B
	s_add_u32 m0, 0x500, s46                                   // 00000000333C: 807C2EFF 00000500
	buffer_load_dword v28, s[4:7], 0 offen lds                 // 000000003344: E0511000 8001001C
	s_add_u32 m0, 0x600, s46                                   // 00000000334C: 807C2EFF 00000600
	buffer_load_dword v29, s[4:7], 0 offen lds                 // 000000003354: E0511000 8001001D
	s_add_u32 m0, 0x700, s46                                   // 00000000335C: 807C2EFF 00000700
	buffer_load_dword v30, s[4:7], 0 offen lds                 // 000000003364: E0511000 8001001E
	s_add_u32 m0, 0x800, s46                                   // 00000000336C: 807C2EFF 00000800
	buffer_load_dword v31, s[4:7], 0 offen lds                 // 000000003374: E0511000 8001001F
	s_add_u32 m0, 0x900, s46                                   // 00000000337C: 807C2EFF 00000900
	buffer_load_dword v32, s[4:7], 0 offen lds                 // 000000003384: E0511000 80010020
	s_add_u32 m0, 0xa00, s46                                   // 00000000338C: 807C2EFF 00000A00
	buffer_load_dword v33, s[4:7], 0 offen lds                 // 000000003394: E0511000 80010021
	s_add_u32 m0, 0xb00, s46                                   // 00000000339C: 807C2EFF 00000B00
	buffer_load_dword v34, s[4:7], 0 offen lds                 // 0000000033A4: E0511000 80010022
	s_add_u32 m0, 0xc00, s46                                   // 0000000033AC: 807C2EFF 00000C00
	buffer_load_dword v35, s[4:7], 0 offen lds                 // 0000000033B4: E0511000 80010023
	s_add_u32 m0, 0xd00, s46                                   // 0000000033BC: 807C2EFF 00000D00
	buffer_load_dword v36, s[4:7], 0 offen lds                 // 0000000033C4: E0511000 80010024
	s_add_u32 m0, 0xe00, s46                                   // 0000000033CC: 807C2EFF 00000E00
	buffer_load_dword v37, s[4:7], 0 offen lds                 // 0000000033D4: E0511000 80010025
	s_add_u32 m0, 0xf00, s46                                   // 0000000033DC: 807C2EFF 00000F00
	buffer_load_dword v38, s[4:7], 0 offen lds                 // 0000000033E4: E0511000 80010026
	s_add_u32 m0, 0x1000, s46                                  // 0000000033EC: 807C2EFF 00001000
	buffer_load_dword v39, s[4:7], 0 offen lds                 // 0000000033F4: E0511000 80010027
	s_add_u32 m0, 0x1100, s46                                  // 0000000033FC: 807C2EFF 00001100
	buffer_load_dword v40, s[4:7], 0 offen lds                 // 000000003404: E0511000 80010028
	s_add_u32 m0, 0x1200, s46                                  // 00000000340C: 807C2EFF 00001200
	buffer_load_dword v41, s[4:7], 0 offen lds                 // 000000003414: E0511000 80010029
	s_add_u32 m0, 0x1300, s46                                  // 00000000341C: 807C2EFF 00001300
	buffer_load_dword v42, s[4:7], 0 offen lds                 // 000000003424: E0511000 8001002A
	s_add_u32 s4, s44, s4                                      // 00000000342C: 8004042C
	s_addc_u32 s5, 0, s5                                       // 000000003430: 82050580
	s_sub_u32 s6, s6, s44                                      // 000000003434: 80862C06
	buffer_load_dwordx4 a[160:163], v44, s[8:11], 0 offen      // 000000003438: E05C1000 8082A02C
	buffer_load_dwordx4 a[164:167], v45, s[8:11], 0 offen      // 000000003440: E05C1000 8082A42D
	s_add_u32 s8, s45, s8                                      // 000000003448: 8008082D
	s_addc_u32 s9, 0, s9                                       // 00000000344C: 82090980
	s_sub_u32 s10, s10, s45                                    // 000000003450: 808A2D0A
	s_add_u32 m0, 0, s47                                       // 000000003454: 807C2F80
	buffer_load_dword v23, s[4:7], 0 offen lds                 // 000000003458: E0511000 80010017
	s_add_u32 m0, 0x100, s47                                   // 000000003460: 807C2FFF 00000100
	buffer_load_dword v24, s[4:7], 0 offen lds                 // 000000003468: E0511000 80010018
	s_add_u32 m0, 0x200, s47                                   // 000000003470: 807C2FFF 00000200
	;; [unrolled: 2-line block ×3, first 2 shown]
	buffer_load_dword v26, s[4:7], 0 offen lds                 // 000000003488: E0511000 8001001A
	s_add_u32 m0, 0x400, s47                                   // 000000003490: 807C2FFF 00000400
	buffer_load_dword v27, s[4:7], 0 offen lds                 // 000000003498: E0511000 8001001B
	s_add_u32 m0, 0x500, s47                                   // 0000000034A0: 807C2FFF 00000500
	buffer_load_dword v28, s[4:7], 0 offen lds                 // 0000000034A8: E0511000 8001001C
	s_add_u32 m0, 0x600, s47                                   // 0000000034B0: 807C2FFF 00000600
	buffer_load_dword v29, s[4:7], 0 offen lds                 // 0000000034B8: E0511000 8001001D
	s_add_u32 m0, 0x700, s47                                   // 0000000034C0: 807C2FFF 00000700
	buffer_load_dword v30, s[4:7], 0 offen lds                 // 0000000034C8: E0511000 8001001E
	s_add_u32 m0, 0x800, s47                                   // 0000000034D0: 807C2FFF 00000800
	buffer_load_dword v31, s[4:7], 0 offen lds                 // 0000000034D8: E0511000 8001001F
	s_add_u32 m0, 0x900, s47                                   // 0000000034E0: 807C2FFF 00000900
	buffer_load_dword v32, s[4:7], 0 offen lds                 // 0000000034E8: E0511000 80010020
	s_add_u32 m0, 0xa00, s47                                   // 0000000034F0: 807C2FFF 00000A00
	buffer_load_dword v33, s[4:7], 0 offen lds                 // 0000000034F8: E0511000 80010021
	s_add_u32 m0, 0xb00, s47                                   // 000000003500: 807C2FFF 00000B00
	buffer_load_dword v34, s[4:7], 0 offen lds                 // 000000003508: E0511000 80010022
	s_add_u32 m0, 0xc00, s47                                   // 000000003510: 807C2FFF 00000C00
	buffer_load_dword v35, s[4:7], 0 offen lds                 // 000000003518: E0511000 80010023
	s_add_u32 m0, 0xd00, s47                                   // 000000003520: 807C2FFF 00000D00
	buffer_load_dword v36, s[4:7], 0 offen lds                 // 000000003528: E0511000 80010024
	s_add_u32 m0, 0xe00, s47                                   // 000000003530: 807C2FFF 00000E00
	buffer_load_dword v37, s[4:7], 0 offen lds                 // 000000003538: E0511000 80010025
	s_add_u32 m0, 0xf00, s47                                   // 000000003540: 807C2FFF 00000F00
	buffer_load_dword v38, s[4:7], 0 offen lds                 // 000000003548: E0511000 80010026
	s_add_u32 m0, 0x1000, s47                                  // 000000003550: 807C2FFF 00001000
	buffer_load_dword v39, s[4:7], 0 offen lds                 // 000000003558: E0511000 80010027
	s_add_u32 m0, 0x1100, s47                                  // 000000003560: 807C2FFF 00001100
	;; [unrolled: 2-line block ×4, first 2 shown]
	buffer_load_dword v42, s[4:7], 0 offen lds                 // 000000003588: E0511000 8001002A
	s_add_u32 s4, s44, s4                                      // 000000003590: 8004042C
	s_addc_u32 s5, 0, s5                                       // 000000003594: 82050580
	s_sub_u32 s6, s6, s44                                      // 000000003598: 80862C06
	buffer_load_dwordx4 a[168:171], v44, s[8:11], 0 offen      // 00000000359C: E05C1000 8082A82C
	buffer_load_dwordx4 a[172:175], v45, s[8:11], 0 offen      // 0000000035A4: E05C1000 8082AC2D
	s_add_u32 s8, s45, s8                                      // 0000000035AC: 8008082D
	s_addc_u32 s9, 0, s9                                       // 0000000035B0: 82090980
	s_sub_u32 s10, s10, s45                                    // 0000000035B4: 808A2D0A
	s_add_u32 m0, 0, s48                                       // 0000000035B8: 807C3080
	buffer_load_dword v23, s[4:7], 0 offen lds                 // 0000000035BC: E0511000 80010017
	s_add_u32 m0, 0x100, s48                                   // 0000000035C4: 807C30FF 00000100
	buffer_load_dword v24, s[4:7], 0 offen lds                 // 0000000035CC: E0511000 80010018
	s_add_u32 m0, 0x200, s48                                   // 0000000035D4: 807C30FF 00000200
	buffer_load_dword v25, s[4:7], 0 offen lds                 // 0000000035DC: E0511000 80010019
	s_add_u32 m0, 0x300, s48                                   // 0000000035E4: 807C30FF 00000300
	buffer_load_dword v26, s[4:7], 0 offen lds                 // 0000000035EC: E0511000 8001001A
	s_add_u32 m0, 0x400, s48                                   // 0000000035F4: 807C30FF 00000400
	buffer_load_dword v27, s[4:7], 0 offen lds                 // 0000000035FC: E0511000 8001001B
	s_add_u32 m0, 0x500, s48                                   // 000000003604: 807C30FF 00000500
	buffer_load_dword v28, s[4:7], 0 offen lds                 // 00000000360C: E0511000 8001001C
	s_add_u32 m0, 0x600, s48                                   // 000000003614: 807C30FF 00000600
	buffer_load_dword v29, s[4:7], 0 offen lds                 // 00000000361C: E0511000 8001001D
	s_add_u32 m0, 0x700, s48                                   // 000000003624: 807C30FF 00000700
	buffer_load_dword v30, s[4:7], 0 offen lds                 // 00000000362C: E0511000 8001001E
	s_add_u32 m0, 0x800, s48                                   // 000000003634: 807C30FF 00000800
	buffer_load_dword v31, s[4:7], 0 offen lds                 // 00000000363C: E0511000 8001001F
	s_add_u32 m0, 0x900, s48                                   // 000000003644: 807C30FF 00000900
	buffer_load_dword v32, s[4:7], 0 offen lds                 // 00000000364C: E0511000 80010020
	s_add_u32 m0, 0xa00, s48                                   // 000000003654: 807C30FF 00000A00
	buffer_load_dword v33, s[4:7], 0 offen lds                 // 00000000365C: E0511000 80010021
	s_add_u32 m0, 0xb00, s48                                   // 000000003664: 807C30FF 00000B00
	buffer_load_dword v34, s[4:7], 0 offen lds                 // 00000000366C: E0511000 80010022
	s_add_u32 m0, 0xc00, s48                                   // 000000003674: 807C30FF 00000C00
	buffer_load_dword v35, s[4:7], 0 offen lds                 // 00000000367C: E0511000 80010023
	s_add_u32 m0, 0xd00, s48                                   // 000000003684: 807C30FF 00000D00
	buffer_load_dword v36, s[4:7], 0 offen lds                 // 00000000368C: E0511000 80010024
	s_add_u32 m0, 0xe00, s48                                   // 000000003694: 807C30FF 00000E00
	buffer_load_dword v37, s[4:7], 0 offen lds                 // 00000000369C: E0511000 80010025
	s_add_u32 m0, 0xf00, s48                                   // 0000000036A4: 807C30FF 00000F00
	buffer_load_dword v38, s[4:7], 0 offen lds                 // 0000000036AC: E0511000 80010026
	s_add_u32 m0, 0x1000, s48                                  // 0000000036B4: 807C30FF 00001000
	buffer_load_dword v39, s[4:7], 0 offen lds                 // 0000000036BC: E0511000 80010027
	s_add_u32 m0, 0x1100, s48                                  // 0000000036C4: 807C30FF 00001100
	buffer_load_dword v40, s[4:7], 0 offen lds                 // 0000000036CC: E0511000 80010028
	s_add_u32 m0, 0x1200, s48                                  // 0000000036D4: 807C30FF 00001200
	buffer_load_dword v41, s[4:7], 0 offen lds                 // 0000000036DC: E0511000 80010029
	s_add_u32 m0, 0x1300, s48                                  // 0000000036E4: 807C30FF 00001300
	buffer_load_dword v42, s[4:7], 0 offen lds                 // 0000000036EC: E0511000 8001002A
	s_add_u32 s4, s44, s4                                      // 0000000036F4: 8004042C
	s_addc_u32 s5, 0, s5                                       // 0000000036F8: 82050580
	s_sub_u32 s6, s6, s44                                      // 0000000036FC: 80862C06
	s_mov_b32 s34, s27                                         // 000000003700: BEA2001B
	s_mov_b32 s33, 0                                           // 000000003704: BEA10080
	s_mul_i32 s31, s23, 0xa0                                   // 000000003708: 921FFF17 000000A0
	s_sub_i32 s55, s25, s31                                    // 000000003710: 81B71F19
	s_waitcnt vmcnt(44)                                        // 000000003714: BF8C8F7C
	s_barrier                                                  // 000000003718: BF8A0000
	s_or_b32 s31, s53, s24                                     // 00000000371C: 871F1835
	s_cmp_eq_u32 s31, 0                                        // 000000003720: BF06801F
	s_cbranch_scc0 label_034C                                  // 000000003724: BF840002
	s_store_dword s52, s[40:41], s62 glc                       // 000000003728: C0410D14 0000003E

0000000000003730 <label_034C>:
	ds_read_b128 a[0:3], v43                                   // 000000003730: DBFE0000 0000002B
	ds_read_b128 a[4:7], v43 offset:64                         // 000000003738: DBFE0040 0400002B
	ds_read_b128 a[8:11], v43 offset:512                       // 000000003740: DBFE0200 0800002B
	ds_read_b128 a[12:15], v43 offset:576                      // 000000003748: DBFE0240 0C00002B
	ds_read_b128 a[16:19], v43 offset:1024                     // 000000003750: DBFE0400 1000002B
	ds_read_b128 a[20:23], v43 offset:1088                     // 000000003758: DBFE0440 1400002B
	ds_read_b128 a[24:27], v43 offset:1536                     // 000000003760: DBFE0600 1800002B
	ds_read_b128 a[28:31], v43 offset:1600                     // 000000003768: DBFE0640 1C00002B
	ds_read_b128 a[32:35], v43 offset:2048                     // 000000003770: DBFE0800 2000002B
	ds_read_b128 a[36:39], v43 offset:2112                     // 000000003778: DBFE0840 2400002B
	ds_read_b128 a[40:43], v43 offset:2560                     // 000000003780: DBFE0A00 2800002B
	ds_read_b128 a[44:47], v43 offset:2624                     // 000000003788: DBFE0A40 2C00002B
	ds_read_b128 a[48:51], v43 offset:3072                     // 000000003790: DBFE0C00 3000002B
	ds_read_b128 a[52:55], v43 offset:3136                     // 000000003798: DBFE0C40 3400002B
	ds_read_b128 a[56:59], v43 offset:3584                     // 0000000037A0: DBFE0E00 3800002B
	ds_read_b128 a[60:63], v43 offset:3648                     // 0000000037A8: DBFE0E40 3C00002B
	ds_read_b128 a[64:67], v43 offset:4096                     // 0000000037B0: DBFE1000 4000002B
	ds_read_b128 a[68:71], v43 offset:4160                     // 0000000037B8: DBFE1040 4400002B
	ds_read_b128 a[72:75], v43 offset:4608                     // 0000000037C0: DBFE1200 4800002B
	ds_read_b128 a[76:79], v43 offset:4672                     // 0000000037C8: DBFE1240 4C00002B
	s_cmp_lt_i32 s24, 2                                        // 0000000037D0: BF048218
	s_cbranch_scc0 label_089F                                  // 0000000037D4: BF840529

00000000000037d8 <label_0376>:
	s_waitcnt vmcnt(22) lgkmcnt(0)                             // 0000000037D8: BF8C4076
	s_barrier                                                  // 0000000037DC: BF8A0000
	v_mfma_f32_16x16x16_bf16 v[48:51], a[160:161], a[0:1], v[48:51]// 0000000037E0: D3E10030 1CC201A0
	s_add_u32 m0, 0, s46                                       // 0000000037E8: 807C2E80
	buffer_load_dword v23, s[4:7], 0 offen lds                 // 0000000037EC: E0511000 80010017
	v_mfma_f32_16x16x16_bf16 v[48:51], a[162:163], a[2:3], v[48:51]// 0000000037F4: D3E10030 1CC205A2
	s_add_u32 m0, 0x100, s46                                   // 0000000037FC: 807C2EFF 00000100
	buffer_load_dword v24, s[4:7], 0 offen lds                 // 000000003804: E0511000 80010018
	ds_read_b128 a[80:83], v43 offset:20608                    // 00000000380C: DBFE5080 5000002B
	ds_read_b128 a[84:87], v43 offset:20672                    // 000000003814: DBFE50C0 5400002B
	v_mfma_f32_16x16x16_bf16 v[48:51], a[164:165], a[4:5], v[48:51]// 00000000381C: D3E10030 1CC209A4
	s_add_u32 m0, 0x200, s46                                   // 000000003824: 807C2EFF 00000200
	buffer_load_dword v25, s[4:7], 0 offen lds                 // 00000000382C: E0511000 80010019
	v_mfma_f32_16x16x16_bf16 v[48:51], a[166:167], a[6:7], v[48:51]// 000000003834: D3E10030 1CC20DA6
	s_add_u32 m0, 0x300, s46                                   // 00000000383C: 807C2EFF 00000300
	buffer_load_dword v26, s[4:7], 0 offen lds                 // 000000003844: E0511000 8001001A
	ds_read_b128 a[88:91], v43 offset:21120                    // 00000000384C: DBFE5280 5800002B
	ds_read_b128 a[92:95], v43 offset:21184                    // 000000003854: DBFE52C0 5C00002B
	v_mfma_f32_16x16x16_bf16 v[52:55], a[160:161], a[8:9], v[52:55]// 00000000385C: D3E10034 1CD211A0
	s_add_u32 m0, 0x400, s46                                   // 000000003864: 807C2EFF 00000400
	buffer_load_dword v27, s[4:7], 0 offen lds                 // 00000000386C: E0511000 8001001B
	v_mfma_f32_16x16x16_bf16 v[52:55], a[162:163], a[10:11], v[52:55]// 000000003874: D3E10034 1CD215A2
	s_add_u32 m0, 0x500, s46                                   // 00000000387C: 807C2EFF 00000500
	buffer_load_dword v28, s[4:7], 0 offen lds                 // 000000003884: E0511000 8001001C
	ds_read_b128 a[96:99], v43 offset:21632                    // 00000000388C: DBFE5480 6000002B
	ds_read_b128 a[100:103], v43 offset:21696                  // 000000003894: DBFE54C0 6400002B
	v_mfma_f32_16x16x16_bf16 v[52:55], a[164:165], a[12:13], v[52:55]// 00000000389C: D3E10034 1CD219A4
	s_add_u32 m0, 0x600, s46                                   // 0000000038A4: 807C2EFF 00000600
	buffer_load_dword v29, s[4:7], 0 offen lds                 // 0000000038AC: E0511000 8001001D
	v_mfma_f32_16x16x16_bf16 v[52:55], a[166:167], a[14:15], v[52:55]// 0000000038B4: D3E10034 1CD21DA6
	s_add_u32 m0, 0x700, s46                                   // 0000000038BC: 807C2EFF 00000700
	buffer_load_dword v30, s[4:7], 0 offen lds                 // 0000000038C4: E0511000 8001001E
	ds_read_b128 a[104:107], v43 offset:22144                  // 0000000038CC: DBFE5680 6800002B
	ds_read_b128 a[108:111], v43 offset:22208                  // 0000000038D4: DBFE56C0 6C00002B
	v_mfma_f32_16x16x16_bf16 v[56:59], a[160:161], a[16:17], v[56:59]// 0000000038DC: D3E10038 1CE221A0
	s_add_u32 m0, 0x800, s46                                   // 0000000038E4: 807C2EFF 00000800
	buffer_load_dword v31, s[4:7], 0 offen lds                 // 0000000038EC: E0511000 8001001F
	v_mfma_f32_16x16x16_bf16 v[56:59], a[162:163], a[18:19], v[56:59]// 0000000038F4: D3E10038 1CE225A2
	s_add_u32 m0, 0x900, s46                                   // 0000000038FC: 807C2EFF 00000900
	buffer_load_dword v32, s[4:7], 0 offen lds                 // 000000003904: E0511000 80010020
	ds_read_b128 a[112:115], v43 offset:22656                  // 00000000390C: DBFE5880 7000002B
	ds_read_b128 a[116:119], v43 offset:22720                  // 000000003914: DBFE58C0 7400002B
	v_mfma_f32_16x16x16_bf16 v[56:59], a[164:165], a[20:21], v[56:59]// 00000000391C: D3E10038 1CE229A4
	s_add_u32 m0, 0xa00, s46                                   // 000000003924: 807C2EFF 00000A00
	buffer_load_dword v33, s[4:7], 0 offen lds                 // 00000000392C: E0511000 80010021
	v_mfma_f32_16x16x16_bf16 v[56:59], a[166:167], a[22:23], v[56:59]// 000000003934: D3E10038 1CE22DA6
	s_add_u32 m0, 0xb00, s46                                   // 00000000393C: 807C2EFF 00000B00
	buffer_load_dword v34, s[4:7], 0 offen lds                 // 000000003944: E0511000 80010022
	ds_read_b128 a[120:123], v43 offset:23168                  // 00000000394C: DBFE5A80 7800002B
	ds_read_b128 a[124:127], v43 offset:23232                  // 000000003954: DBFE5AC0 7C00002B
	v_mfma_f32_16x16x16_bf16 v[60:63], a[160:161], a[24:25], v[60:63]// 00000000395C: D3E1003C 1CF231A0
	s_add_u32 m0, 0xc00, s46                                   // 000000003964: 807C2EFF 00000C00
	buffer_load_dword v35, s[4:7], 0 offen lds                 // 00000000396C: E0511000 80010023
	v_mfma_f32_16x16x16_bf16 v[60:63], a[162:163], a[26:27], v[60:63]// 000000003974: D3E1003C 1CF235A2
	s_add_u32 m0, 0xd00, s46                                   // 00000000397C: 807C2EFF 00000D00
	buffer_load_dword v36, s[4:7], 0 offen lds                 // 000000003984: E0511000 80010024
	ds_read_b128 a[128:131], v43 offset:23680                  // 00000000398C: DBFE5C80 8000002B
	ds_read_b128 a[132:135], v43 offset:23744                  // 000000003994: DBFE5CC0 8400002B
	v_mfma_f32_16x16x16_bf16 v[60:63], a[164:165], a[28:29], v[60:63]// 00000000399C: D3E1003C 1CF239A4
	s_add_u32 m0, 0xe00, s46                                   // 0000000039A4: 807C2EFF 00000E00
	buffer_load_dword v37, s[4:7], 0 offen lds                 // 0000000039AC: E0511000 80010025
	v_mfma_f32_16x16x16_bf16 v[60:63], a[166:167], a[30:31], v[60:63]// 0000000039B4: D3E1003C 1CF23DA6
	s_add_u32 m0, 0xf00, s46                                   // 0000000039BC: 807C2EFF 00000F00
	buffer_load_dword v38, s[4:7], 0 offen lds                 // 0000000039C4: E0511000 80010026
	ds_read_b128 a[136:139], v43 offset:24192                  // 0000000039CC: DBFE5E80 8800002B
	ds_read_b128 a[140:143], v43 offset:24256                  // 0000000039D4: DBFE5EC0 8C00002B
	v_mfma_f32_16x16x16_bf16 v[64:67], a[160:161], a[32:33], v[64:67]// 0000000039DC: D3E10040 1D0241A0
	s_add_u32 m0, 0x1000, s46                                  // 0000000039E4: 807C2EFF 00001000
	buffer_load_dword v39, s[4:7], 0 offen lds                 // 0000000039EC: E0511000 80010027
	v_mfma_f32_16x16x16_bf16 v[64:67], a[162:163], a[34:35], v[64:67]// 0000000039F4: D3E10040 1D0245A2
	s_add_u32 m0, 0x1100, s46                                  // 0000000039FC: 807C2EFF 00001100
	buffer_load_dword v40, s[4:7], 0 offen lds                 // 000000003A04: E0511000 80010028
	ds_read_b128 a[144:147], v43 offset:24704                  // 000000003A0C: DBFE6080 9000002B
	ds_read_b128 a[148:151], v43 offset:24768                  // 000000003A14: DBFE60C0 9400002B
	v_mfma_f32_16x16x16_bf16 v[64:67], a[164:165], a[36:37], v[64:67]// 000000003A1C: D3E10040 1D0249A4
	s_add_u32 m0, 0x1200, s46                                  // 000000003A24: 807C2EFF 00001200
	buffer_load_dword v41, s[4:7], 0 offen lds                 // 000000003A2C: E0511000 80010029
	v_mfma_f32_16x16x16_bf16 v[64:67], a[166:167], a[38:39], v[64:67]// 000000003A34: D3E10040 1D024DA6
	s_add_u32 m0, 0x1300, s46                                  // 000000003A3C: 807C2EFF 00001300
	buffer_load_dword v42, s[4:7], 0 offen lds                 // 000000003A44: E0511000 8001002A
	ds_read_b128 a[152:155], v43 offset:25216                  // 000000003A4C: DBFE6280 9800002B
	ds_read_b128 a[156:159], v43 offset:25280                  // 000000003A54: DBFE62C0 9C00002B
	v_mfma_f32_16x16x16_bf16 v[68:71], a[160:161], a[40:41], v[68:71]// 000000003A5C: D3E10044 1D1251A0
	s_add_u32 s31, 0x100, s33                                  // 000000003A64: 801F21FF 00000100
	s_cmp_lt_u32 s31, s34                                      // 000000003A6C: BF0A221F
	s_cselect_b32 s44, s44, 0                                  // 000000003A70: 852C802C
	buffer_load_dwordx4 a[176:179], v44, s[8:11], 0 offen      // 000000003A74: E05C1000 8082B02C
	v_mfma_f32_16x16x16_bf16 v[68:71], a[162:163], a[42:43], v[68:71]// 000000003A7C: D3E10044 1D1255A2
	buffer_load_dwordx4 a[180:183], v45, s[8:11], 0 offen      // 000000003A84: E05C1000 8082B42D
	s_add_u32 s4, s44, s4                                      // 000000003A8C: 8004042C
	s_addc_u32 s5, 0, s5                                       // 000000003A90: 82050580
	v_mfma_f32_16x16x16_bf16 v[68:71], a[164:165], a[44:45], v[68:71]// 000000003A94: D3E10044 1D1259A4
	s_add_u32 s31, 0xc0, s33                                   // 000000003A9C: 801F21FF 000000C0
	s_cmp_lt_u32 s31, s34                                      // 000000003AA4: BF0A221F
	s_cselect_b32 s45, s45, 0                                  // 000000003AA8: 852D802D
	v_mfma_f32_16x16x16_bf16 v[68:71], a[166:167], a[46:47], v[68:71]// 000000003AAC: D3E10044 1D125DA6
	s_add_u32 s8, s45, s8                                      // 000000003AB4: 8008082D
	s_addc_u32 s9, 0, s9                                       // 000000003AB8: 82090980
	v_mfma_f32_16x16x16_bf16 v[72:75], a[160:161], a[48:49], v[72:75]// 000000003ABC: D3E10048 1D2261A0
	v_mfma_f32_16x16x16_bf16 v[72:75], a[162:163], a[50:51], v[72:75]// 000000003AC4: D3E10048 1D2265A2
	v_mfma_f32_16x16x16_bf16 v[72:75], a[164:165], a[52:53], v[72:75]// 000000003ACC: D3E10048 1D2269A4
	v_mfma_f32_16x16x16_bf16 v[72:75], a[166:167], a[54:55], v[72:75]// 000000003AD4: D3E10048 1D226DA6
	v_mfma_f32_16x16x16_bf16 v[76:79], a[160:161], a[56:57], v[76:79]// 000000003ADC: D3E1004C 1D3271A0
	v_mfma_f32_16x16x16_bf16 v[76:79], a[162:163], a[58:59], v[76:79]// 000000003AE4: D3E1004C 1D3275A2
	v_mfma_f32_16x16x16_bf16 v[76:79], a[164:165], a[60:61], v[76:79]// 000000003AEC: D3E1004C 1D3279A4
	v_mfma_f32_16x16x16_bf16 v[76:79], a[166:167], a[62:63], v[76:79]// 000000003AF4: D3E1004C 1D327DA6
	v_mfma_f32_16x16x16_bf16 v[80:83], a[160:161], a[64:65], v[80:83]// 000000003AFC: D3E10050 1D4281A0
	v_mfma_f32_16x16x16_bf16 v[80:83], a[162:163], a[66:67], v[80:83]// 000000003B04: D3E10050 1D4285A2
	v_mfma_f32_16x16x16_bf16 v[80:83], a[164:165], a[68:69], v[80:83]// 000000003B0C: D3E10050 1D4289A4
	v_mfma_f32_16x16x16_bf16 v[80:83], a[166:167], a[70:71], v[80:83]// 000000003B14: D3E10050 1D428DA6
	v_mfma_f32_16x16x16_bf16 v[84:87], a[160:161], a[72:73], v[84:87]// 000000003B1C: D3E10054 1D5291A0
	v_mfma_f32_16x16x16_bf16 v[84:87], a[162:163], a[74:75], v[84:87]// 000000003B24: D3E10054 1D5295A2
	v_mfma_f32_16x16x16_bf16 v[84:87], a[164:165], a[76:77], v[84:87]// 000000003B2C: D3E10054 1D5299A4
	v_mfma_f32_16x16x16_bf16 v[84:87], a[166:167], a[78:79], v[84:87]// 000000003B34: D3E10054 1D529DA6
	s_addk_i32 s33, 0x40                                       // 000000003B3C: B7210040
	s_cmp_lt_i32 s33, s34                                      // 000000003B40: BF042221
	s_cbranch_scc0 label_0DC8                                  // 000000003B44: BF840976
	s_waitcnt vmcnt(22) lgkmcnt(0)                             // 000000003B48: BF8C4076
	s_barrier                                                  // 000000003B4C: BF8A0000
	v_mfma_f32_16x16x16_bf16 v[48:51], a[168:169], a[80:81], v[48:51]// 000000003B50: D3E10030 1CC2A1A8
	s_add_u32 m0, 0, s47                                       // 000000003B58: 807C2F80
	buffer_load_dword v23, s[4:7], 0 offen lds                 // 000000003B5C: E0511000 80010017
	v_mfma_f32_16x16x16_bf16 v[48:51], a[170:171], a[82:83], v[48:51]// 000000003B64: D3E10030 1CC2A5AA
	s_add_u32 m0, 0x100, s47                                   // 000000003B6C: 807C2FFF 00000100
	buffer_load_dword v24, s[4:7], 0 offen lds                 // 000000003B74: E0511000 80010018
	ds_read_b128 a[0:3], v43 offset:41216                      // 000000003B7C: DBFEA100 0000002B
	ds_read_b128 a[4:7], v43 offset:41280                      // 000000003B84: DBFEA140 0400002B
	v_mfma_f32_16x16x16_bf16 v[48:51], a[172:173], a[84:85], v[48:51]// 000000003B8C: D3E10030 1CC2A9AC
	s_add_u32 m0, 0x200, s47                                   // 000000003B94: 807C2FFF 00000200
	buffer_load_dword v25, s[4:7], 0 offen lds                 // 000000003B9C: E0511000 80010019
	v_mfma_f32_16x16x16_bf16 v[48:51], a[174:175], a[86:87], v[48:51]// 000000003BA4: D3E10030 1CC2ADAE
	s_add_u32 m0, 0x300, s47                                   // 000000003BAC: 807C2FFF 00000300
	buffer_load_dword v26, s[4:7], 0 offen lds                 // 000000003BB4: E0511000 8001001A
	ds_read_b128 a[8:11], v43 offset:41728                     // 000000003BBC: DBFEA300 0800002B
	ds_read_b128 a[12:15], v43 offset:41792                    // 000000003BC4: DBFEA340 0C00002B
	v_mfma_f32_16x16x16_bf16 v[52:55], a[168:169], a[88:89], v[52:55]// 000000003BCC: D3E10034 1CD2B1A8
	s_add_u32 m0, 0x400, s47                                   // 000000003BD4: 807C2FFF 00000400
	buffer_load_dword v27, s[4:7], 0 offen lds                 // 000000003BDC: E0511000 8001001B
	v_mfma_f32_16x16x16_bf16 v[52:55], a[170:171], a[90:91], v[52:55]// 000000003BE4: D3E10034 1CD2B5AA
	s_add_u32 m0, 0x500, s47                                   // 000000003BEC: 807C2FFF 00000500
	buffer_load_dword v28, s[4:7], 0 offen lds                 // 000000003BF4: E0511000 8001001C
	ds_read_b128 a[16:19], v43 offset:42240                    // 000000003BFC: DBFEA500 1000002B
	ds_read_b128 a[20:23], v43 offset:42304                    // 000000003C04: DBFEA540 1400002B
	v_mfma_f32_16x16x16_bf16 v[52:55], a[172:173], a[92:93], v[52:55]// 000000003C0C: D3E10034 1CD2B9AC
	s_add_u32 m0, 0x600, s47                                   // 000000003C14: 807C2FFF 00000600
	buffer_load_dword v29, s[4:7], 0 offen lds                 // 000000003C1C: E0511000 8001001D
	v_mfma_f32_16x16x16_bf16 v[52:55], a[174:175], a[94:95], v[52:55]// 000000003C24: D3E10034 1CD2BDAE
	s_add_u32 m0, 0x700, s47                                   // 000000003C2C: 807C2FFF 00000700
	buffer_load_dword v30, s[4:7], 0 offen lds                 // 000000003C34: E0511000 8001001E
	ds_read_b128 a[24:27], v43 offset:42752                    // 000000003C3C: DBFEA700 1800002B
	ds_read_b128 a[28:31], v43 offset:42816                    // 000000003C44: DBFEA740 1C00002B
	v_mfma_f32_16x16x16_bf16 v[56:59], a[168:169], a[96:97], v[56:59]// 000000003C4C: D3E10038 1CE2C1A8
	s_add_u32 m0, 0x800, s47                                   // 000000003C54: 807C2FFF 00000800
	buffer_load_dword v31, s[4:7], 0 offen lds                 // 000000003C5C: E0511000 8001001F
	v_mfma_f32_16x16x16_bf16 v[56:59], a[170:171], a[98:99], v[56:59]// 000000003C64: D3E10038 1CE2C5AA
	s_add_u32 m0, 0x900, s47                                   // 000000003C6C: 807C2FFF 00000900
	buffer_load_dword v32, s[4:7], 0 offen lds                 // 000000003C74: E0511000 80010020
	ds_read_b128 a[32:35], v43 offset:43264                    // 000000003C7C: DBFEA900 2000002B
	ds_read_b128 a[36:39], v43 offset:43328                    // 000000003C84: DBFEA940 2400002B
	v_mfma_f32_16x16x16_bf16 v[56:59], a[172:173], a[100:101], v[56:59]// 000000003C8C: D3E10038 1CE2C9AC
	s_add_u32 m0, 0xa00, s47                                   // 000000003C94: 807C2FFF 00000A00
	buffer_load_dword v33, s[4:7], 0 offen lds                 // 000000003C9C: E0511000 80010021
	v_mfma_f32_16x16x16_bf16 v[56:59], a[174:175], a[102:103], v[56:59]// 000000003CA4: D3E10038 1CE2CDAE
	s_add_u32 m0, 0xb00, s47                                   // 000000003CAC: 807C2FFF 00000B00
	buffer_load_dword v34, s[4:7], 0 offen lds                 // 000000003CB4: E0511000 80010022
	ds_read_b128 a[40:43], v43 offset:43776                    // 000000003CBC: DBFEAB00 2800002B
	ds_read_b128 a[44:47], v43 offset:43840                    // 000000003CC4: DBFEAB40 2C00002B
	v_mfma_f32_16x16x16_bf16 v[60:63], a[168:169], a[104:105], v[60:63]// 000000003CCC: D3E1003C 1CF2D1A8
	s_add_u32 m0, 0xc00, s47                                   // 000000003CD4: 807C2FFF 00000C00
	buffer_load_dword v35, s[4:7], 0 offen lds                 // 000000003CDC: E0511000 80010023
	v_mfma_f32_16x16x16_bf16 v[60:63], a[170:171], a[106:107], v[60:63]// 000000003CE4: D3E1003C 1CF2D5AA
	s_add_u32 m0, 0xd00, s47                                   // 000000003CEC: 807C2FFF 00000D00
	buffer_load_dword v36, s[4:7], 0 offen lds                 // 000000003CF4: E0511000 80010024
	ds_read_b128 a[48:51], v43 offset:44288                    // 000000003CFC: DBFEAD00 3000002B
	ds_read_b128 a[52:55], v43 offset:44352                    // 000000003D04: DBFEAD40 3400002B
	v_mfma_f32_16x16x16_bf16 v[60:63], a[172:173], a[108:109], v[60:63]// 000000003D0C: D3E1003C 1CF2D9AC
	s_add_u32 m0, 0xe00, s47                                   // 000000003D14: 807C2FFF 00000E00
	buffer_load_dword v37, s[4:7], 0 offen lds                 // 000000003D1C: E0511000 80010025
	v_mfma_f32_16x16x16_bf16 v[60:63], a[174:175], a[110:111], v[60:63]// 000000003D24: D3E1003C 1CF2DDAE
	s_add_u32 m0, 0xf00, s47                                   // 000000003D2C: 807C2FFF 00000F00
	buffer_load_dword v38, s[4:7], 0 offen lds                 // 000000003D34: E0511000 80010026
	ds_read_b128 a[56:59], v43 offset:44800                    // 000000003D3C: DBFEAF00 3800002B
	ds_read_b128 a[60:63], v43 offset:44864                    // 000000003D44: DBFEAF40 3C00002B
	v_mfma_f32_16x16x16_bf16 v[64:67], a[168:169], a[112:113], v[64:67]// 000000003D4C: D3E10040 1D02E1A8
	s_add_u32 m0, 0x1000, s47                                  // 000000003D54: 807C2FFF 00001000
	buffer_load_dword v39, s[4:7], 0 offen lds                 // 000000003D5C: E0511000 80010027
	v_mfma_f32_16x16x16_bf16 v[64:67], a[170:171], a[114:115], v[64:67]// 000000003D64: D3E10040 1D02E5AA
	s_add_u32 m0, 0x1100, s47                                  // 000000003D6C: 807C2FFF 00001100
	buffer_load_dword v40, s[4:7], 0 offen lds                 // 000000003D74: E0511000 80010028
	ds_read_b128 a[64:67], v43 offset:45312                    // 000000003D7C: DBFEB100 4000002B
	ds_read_b128 a[68:71], v43 offset:45376                    // 000000003D84: DBFEB140 4400002B
	v_mfma_f32_16x16x16_bf16 v[64:67], a[172:173], a[116:117], v[64:67]// 000000003D8C: D3E10040 1D02E9AC
	s_add_u32 m0, 0x1200, s47                                  // 000000003D94: 807C2FFF 00001200
	buffer_load_dword v41, s[4:7], 0 offen lds                 // 000000003D9C: E0511000 80010029
	v_mfma_f32_16x16x16_bf16 v[64:67], a[174:175], a[118:119], v[64:67]// 000000003DA4: D3E10040 1D02EDAE
	s_add_u32 m0, 0x1300, s47                                  // 000000003DAC: 807C2FFF 00001300
	buffer_load_dword v42, s[4:7], 0 offen lds                 // 000000003DB4: E0511000 8001002A
	ds_read_b128 a[72:75], v43 offset:45824                    // 000000003DBC: DBFEB300 4800002B
	ds_read_b128 a[76:79], v43 offset:45888                    // 000000003DC4: DBFEB340 4C00002B
	v_mfma_f32_16x16x16_bf16 v[68:71], a[168:169], a[120:121], v[68:71]// 000000003DCC: D3E10044 1D12F1A8
	s_add_u32 s31, 0x100, s33                                  // 000000003DD4: 801F21FF 00000100
	s_cmp_lt_u32 s31, s34                                      // 000000003DDC: BF0A221F
	s_cselect_b32 s44, s44, 0                                  // 000000003DE0: 852C802C
	buffer_load_dwordx4 a[160:163], v44, s[8:11], 0 offen      // 000000003DE4: E05C1000 8082A02C
	v_mfma_f32_16x16x16_bf16 v[68:71], a[170:171], a[122:123], v[68:71]// 000000003DEC: D3E10044 1D12F5AA
	buffer_load_dwordx4 a[164:167], v45, s[8:11], 0 offen      // 000000003DF4: E05C1000 8082A42D
	s_add_u32 s4, s44, s4                                      // 000000003DFC: 8004042C
	s_addc_u32 s5, 0, s5                                       // 000000003E00: 82050580
	v_mfma_f32_16x16x16_bf16 v[68:71], a[172:173], a[124:125], v[68:71]// 000000003E04: D3E10044 1D12F9AC
	s_add_u32 s31, 0xc0, s33                                   // 000000003E0C: 801F21FF 000000C0
	s_cmp_lt_u32 s31, s34                                      // 000000003E14: BF0A221F
	s_cselect_b32 s45, s45, 0                                  // 000000003E18: 852D802D
	v_mfma_f32_16x16x16_bf16 v[68:71], a[174:175], a[126:127], v[68:71]// 000000003E1C: D3E10044 1D12FDAE
	s_add_u32 s8, s45, s8                                      // 000000003E24: 8008082D
	s_addc_u32 s9, 0, s9                                       // 000000003E28: 82090980
	v_mfma_f32_16x16x16_bf16 v[72:75], a[168:169], a[128:129], v[72:75]// 000000003E2C: D3E10048 1D2301A8
	v_mfma_f32_16x16x16_bf16 v[72:75], a[170:171], a[130:131], v[72:75]// 000000003E34: D3E10048 1D2305AA
	v_mfma_f32_16x16x16_bf16 v[72:75], a[172:173], a[132:133], v[72:75]// 000000003E3C: D3E10048 1D2309AC
	v_mfma_f32_16x16x16_bf16 v[72:75], a[174:175], a[134:135], v[72:75]// 000000003E44: D3E10048 1D230DAE
	v_mfma_f32_16x16x16_bf16 v[76:79], a[168:169], a[136:137], v[76:79]// 000000003E4C: D3E1004C 1D3311A8
	v_mfma_f32_16x16x16_bf16 v[76:79], a[170:171], a[138:139], v[76:79]// 000000003E54: D3E1004C 1D3315AA
	v_mfma_f32_16x16x16_bf16 v[76:79], a[172:173], a[140:141], v[76:79]// 000000003E5C: D3E1004C 1D3319AC
	v_mfma_f32_16x16x16_bf16 v[76:79], a[174:175], a[142:143], v[76:79]// 000000003E64: D3E1004C 1D331DAE
	v_mfma_f32_16x16x16_bf16 v[80:83], a[168:169], a[144:145], v[80:83]// 000000003E6C: D3E10050 1D4321A8
	v_mfma_f32_16x16x16_bf16 v[80:83], a[170:171], a[146:147], v[80:83]// 000000003E74: D3E10050 1D4325AA
	v_mfma_f32_16x16x16_bf16 v[80:83], a[172:173], a[148:149], v[80:83]// 000000003E7C: D3E10050 1D4329AC
	v_mfma_f32_16x16x16_bf16 v[80:83], a[174:175], a[150:151], v[80:83]// 000000003E84: D3E10050 1D432DAE
	v_mfma_f32_16x16x16_bf16 v[84:87], a[168:169], a[152:153], v[84:87]// 000000003E8C: D3E10054 1D5331A8
	v_mfma_f32_16x16x16_bf16 v[84:87], a[170:171], a[154:155], v[84:87]// 000000003E94: D3E10054 1D5335AA
	v_mfma_f32_16x16x16_bf16 v[84:87], a[172:173], a[156:157], v[84:87]// 000000003E9C: D3E10054 1D5339AC
	v_mfma_f32_16x16x16_bf16 v[84:87], a[174:175], a[158:159], v[84:87]// 000000003EA4: D3E10054 1D533DAE
	s_addk_i32 s33, 0x40                                       // 000000003EAC: B7210040
	s_cmp_lt_i32 s33, s34                                      // 000000003EB0: BF042221
	s_cbranch_scc0 label_0DC8                                  // 000000003EB4: BF84089A
	s_waitcnt vmcnt(22) lgkmcnt(0)                             // 000000003EB8: BF8C4076
	s_barrier                                                  // 000000003EBC: BF8A0000
	v_mfma_f32_16x16x16_bf16 v[48:51], a[176:177], a[0:1], v[48:51]// 000000003EC0: D3E10030 1CC201B0
	s_add_u32 m0, 0, s48                                       // 000000003EC8: 807C3080
	buffer_load_dword v23, s[4:7], 0 offen lds                 // 000000003ECC: E0511000 80010017
	v_mfma_f32_16x16x16_bf16 v[48:51], a[178:179], a[2:3], v[48:51]// 000000003ED4: D3E10030 1CC205B2
	s_add_u32 m0, 0x100, s48                                   // 000000003EDC: 807C30FF 00000100
	buffer_load_dword v24, s[4:7], 0 offen lds                 // 000000003EE4: E0511000 80010018
	ds_read_b128 a[80:83], v43                                 // 000000003EEC: DBFE0000 5000002B
	ds_read_b128 a[84:87], v43 offset:64                       // 000000003EF4: DBFE0040 5400002B
	v_mfma_f32_16x16x16_bf16 v[48:51], a[180:181], a[4:5], v[48:51]// 000000003EFC: D3E10030 1CC209B4
	s_add_u32 m0, 0x200, s48                                   // 000000003F04: 807C30FF 00000200
	buffer_load_dword v25, s[4:7], 0 offen lds                 // 000000003F0C: E0511000 80010019
	v_mfma_f32_16x16x16_bf16 v[48:51], a[182:183], a[6:7], v[48:51]// 000000003F14: D3E10030 1CC20DB6
	s_add_u32 m0, 0x300, s48                                   // 000000003F1C: 807C30FF 00000300
	buffer_load_dword v26, s[4:7], 0 offen lds                 // 000000003F24: E0511000 8001001A
	ds_read_b128 a[88:91], v43 offset:512                      // 000000003F2C: DBFE0200 5800002B
	ds_read_b128 a[92:95], v43 offset:576                      // 000000003F34: DBFE0240 5C00002B
	v_mfma_f32_16x16x16_bf16 v[52:55], a[176:177], a[8:9], v[52:55]// 000000003F3C: D3E10034 1CD211B0
	s_add_u32 m0, 0x400, s48                                   // 000000003F44: 807C30FF 00000400
	buffer_load_dword v27, s[4:7], 0 offen lds                 // 000000003F4C: E0511000 8001001B
	v_mfma_f32_16x16x16_bf16 v[52:55], a[178:179], a[10:11], v[52:55]// 000000003F54: D3E10034 1CD215B2
	s_add_u32 m0, 0x500, s48                                   // 000000003F5C: 807C30FF 00000500
	buffer_load_dword v28, s[4:7], 0 offen lds                 // 000000003F64: E0511000 8001001C
	ds_read_b128 a[96:99], v43 offset:1024                     // 000000003F6C: DBFE0400 6000002B
	ds_read_b128 a[100:103], v43 offset:1088                   // 000000003F74: DBFE0440 6400002B
	v_mfma_f32_16x16x16_bf16 v[52:55], a[180:181], a[12:13], v[52:55]// 000000003F7C: D3E10034 1CD219B4
	s_add_u32 m0, 0x600, s48                                   // 000000003F84: 807C30FF 00000600
	buffer_load_dword v29, s[4:7], 0 offen lds                 // 000000003F8C: E0511000 8001001D
	v_mfma_f32_16x16x16_bf16 v[52:55], a[182:183], a[14:15], v[52:55]// 000000003F94: D3E10034 1CD21DB6
	s_add_u32 m0, 0x700, s48                                   // 000000003F9C: 807C30FF 00000700
	buffer_load_dword v30, s[4:7], 0 offen lds                 // 000000003FA4: E0511000 8001001E
	ds_read_b128 a[104:107], v43 offset:1536                   // 000000003FAC: DBFE0600 6800002B
	ds_read_b128 a[108:111], v43 offset:1600                   // 000000003FB4: DBFE0640 6C00002B
	v_mfma_f32_16x16x16_bf16 v[56:59], a[176:177], a[16:17], v[56:59]// 000000003FBC: D3E10038 1CE221B0
	s_add_u32 m0, 0x800, s48                                   // 000000003FC4: 807C30FF 00000800
	buffer_load_dword v31, s[4:7], 0 offen lds                 // 000000003FCC: E0511000 8001001F
	v_mfma_f32_16x16x16_bf16 v[56:59], a[178:179], a[18:19], v[56:59]// 000000003FD4: D3E10038 1CE225B2
	s_add_u32 m0, 0x900, s48                                   // 000000003FDC: 807C30FF 00000900
	buffer_load_dword v32, s[4:7], 0 offen lds                 // 000000003FE4: E0511000 80010020
	ds_read_b128 a[112:115], v43 offset:2048                   // 000000003FEC: DBFE0800 7000002B
	ds_read_b128 a[116:119], v43 offset:2112                   // 000000003FF4: DBFE0840 7400002B
	v_mfma_f32_16x16x16_bf16 v[56:59], a[180:181], a[20:21], v[56:59]// 000000003FFC: D3E10038 1CE229B4
	s_add_u32 m0, 0xa00, s48                                   // 000000004004: 807C30FF 00000A00
	buffer_load_dword v33, s[4:7], 0 offen lds                 // 00000000400C: E0511000 80010021
	v_mfma_f32_16x16x16_bf16 v[56:59], a[182:183], a[22:23], v[56:59]// 000000004014: D3E10038 1CE22DB6
	s_add_u32 m0, 0xb00, s48                                   // 00000000401C: 807C30FF 00000B00
	buffer_load_dword v34, s[4:7], 0 offen lds                 // 000000004024: E0511000 80010022
	ds_read_b128 a[120:123], v43 offset:2560                   // 00000000402C: DBFE0A00 7800002B
	ds_read_b128 a[124:127], v43 offset:2624                   // 000000004034: DBFE0A40 7C00002B
	v_mfma_f32_16x16x16_bf16 v[60:63], a[176:177], a[24:25], v[60:63]// 00000000403C: D3E1003C 1CF231B0
	s_add_u32 m0, 0xc00, s48                                   // 000000004044: 807C30FF 00000C00
	buffer_load_dword v35, s[4:7], 0 offen lds                 // 00000000404C: E0511000 80010023
	v_mfma_f32_16x16x16_bf16 v[60:63], a[178:179], a[26:27], v[60:63]// 000000004054: D3E1003C 1CF235B2
	s_add_u32 m0, 0xd00, s48                                   // 00000000405C: 807C30FF 00000D00
	buffer_load_dword v36, s[4:7], 0 offen lds                 // 000000004064: E0511000 80010024
	ds_read_b128 a[128:131], v43 offset:3072                   // 00000000406C: DBFE0C00 8000002B
	ds_read_b128 a[132:135], v43 offset:3136                   // 000000004074: DBFE0C40 8400002B
	v_mfma_f32_16x16x16_bf16 v[60:63], a[180:181], a[28:29], v[60:63]// 00000000407C: D3E1003C 1CF239B4
	s_add_u32 m0, 0xe00, s48                                   // 000000004084: 807C30FF 00000E00
	buffer_load_dword v37, s[4:7], 0 offen lds                 // 00000000408C: E0511000 80010025
	v_mfma_f32_16x16x16_bf16 v[60:63], a[182:183], a[30:31], v[60:63]// 000000004094: D3E1003C 1CF23DB6
	s_add_u32 m0, 0xf00, s48                                   // 00000000409C: 807C30FF 00000F00
	buffer_load_dword v38, s[4:7], 0 offen lds                 // 0000000040A4: E0511000 80010026
	ds_read_b128 a[136:139], v43 offset:3584                   // 0000000040AC: DBFE0E00 8800002B
	ds_read_b128 a[140:143], v43 offset:3648                   // 0000000040B4: DBFE0E40 8C00002B
	v_mfma_f32_16x16x16_bf16 v[64:67], a[176:177], a[32:33], v[64:67]// 0000000040BC: D3E10040 1D0241B0
	s_add_u32 m0, 0x1000, s48                                  // 0000000040C4: 807C30FF 00001000
	buffer_load_dword v39, s[4:7], 0 offen lds                 // 0000000040CC: E0511000 80010027
	v_mfma_f32_16x16x16_bf16 v[64:67], a[178:179], a[34:35], v[64:67]// 0000000040D4: D3E10040 1D0245B2
	s_add_u32 m0, 0x1100, s48                                  // 0000000040DC: 807C30FF 00001100
	buffer_load_dword v40, s[4:7], 0 offen lds                 // 0000000040E4: E0511000 80010028
	ds_read_b128 a[144:147], v43 offset:4096                   // 0000000040EC: DBFE1000 9000002B
	ds_read_b128 a[148:151], v43 offset:4160                   // 0000000040F4: DBFE1040 9400002B
	v_mfma_f32_16x16x16_bf16 v[64:67], a[180:181], a[36:37], v[64:67]// 0000000040FC: D3E10040 1D0249B4
	s_add_u32 m0, 0x1200, s48                                  // 000000004104: 807C30FF 00001200
	buffer_load_dword v41, s[4:7], 0 offen lds                 // 00000000410C: E0511000 80010029
	v_mfma_f32_16x16x16_bf16 v[64:67], a[182:183], a[38:39], v[64:67]// 000000004114: D3E10040 1D024DB6
	s_add_u32 m0, 0x1300, s48                                  // 00000000411C: 807C30FF 00001300
	buffer_load_dword v42, s[4:7], 0 offen lds                 // 000000004124: E0511000 8001002A
	ds_read_b128 a[152:155], v43 offset:4608                   // 00000000412C: DBFE1200 9800002B
	ds_read_b128 a[156:159], v43 offset:4672                   // 000000004134: DBFE1240 9C00002B
	v_mfma_f32_16x16x16_bf16 v[68:71], a[176:177], a[40:41], v[68:71]// 00000000413C: D3E10044 1D1251B0
	s_add_u32 s31, 0x100, s33                                  // 000000004144: 801F21FF 00000100
	s_cmp_lt_u32 s31, s34                                      // 00000000414C: BF0A221F
	s_cselect_b32 s44, s44, 0                                  // 000000004150: 852C802C
	buffer_load_dwordx4 a[168:171], v44, s[8:11], 0 offen      // 000000004154: E05C1000 8082A82C
	v_mfma_f32_16x16x16_bf16 v[68:71], a[178:179], a[42:43], v[68:71]// 00000000415C: D3E10044 1D1255B2
	buffer_load_dwordx4 a[172:175], v45, s[8:11], 0 offen      // 000000004164: E05C1000 8082AC2D
	s_add_u32 s4, s44, s4                                      // 00000000416C: 8004042C
	s_addc_u32 s5, 0, s5                                       // 000000004170: 82050580
	v_mfma_f32_16x16x16_bf16 v[68:71], a[180:181], a[44:45], v[68:71]// 000000004174: D3E10044 1D1259B4
	s_add_u32 s31, 0xc0, s33                                   // 00000000417C: 801F21FF 000000C0
	s_cmp_lt_u32 s31, s34                                      // 000000004184: BF0A221F
	s_cselect_b32 s45, s45, 0                                  // 000000004188: 852D802D
	v_mfma_f32_16x16x16_bf16 v[68:71], a[182:183], a[46:47], v[68:71]// 00000000418C: D3E10044 1D125DB6
	s_add_u32 s8, s45, s8                                      // 000000004194: 8008082D
	s_addc_u32 s9, 0, s9                                       // 000000004198: 82090980
	v_mfma_f32_16x16x16_bf16 v[72:75], a[176:177], a[48:49], v[72:75]// 00000000419C: D3E10048 1D2261B0
	v_mfma_f32_16x16x16_bf16 v[72:75], a[178:179], a[50:51], v[72:75]// 0000000041A4: D3E10048 1D2265B2
	v_mfma_f32_16x16x16_bf16 v[72:75], a[180:181], a[52:53], v[72:75]// 0000000041AC: D3E10048 1D2269B4
	v_mfma_f32_16x16x16_bf16 v[72:75], a[182:183], a[54:55], v[72:75]// 0000000041B4: D3E10048 1D226DB6
	v_mfma_f32_16x16x16_bf16 v[76:79], a[176:177], a[56:57], v[76:79]// 0000000041BC: D3E1004C 1D3271B0
	v_mfma_f32_16x16x16_bf16 v[76:79], a[178:179], a[58:59], v[76:79]// 0000000041C4: D3E1004C 1D3275B2
	v_mfma_f32_16x16x16_bf16 v[76:79], a[180:181], a[60:61], v[76:79]// 0000000041CC: D3E1004C 1D3279B4
	v_mfma_f32_16x16x16_bf16 v[76:79], a[182:183], a[62:63], v[76:79]// 0000000041D4: D3E1004C 1D327DB6
	v_mfma_f32_16x16x16_bf16 v[80:83], a[176:177], a[64:65], v[80:83]// 0000000041DC: D3E10050 1D4281B0
	v_mfma_f32_16x16x16_bf16 v[80:83], a[178:179], a[66:67], v[80:83]// 0000000041E4: D3E10050 1D4285B2
	v_mfma_f32_16x16x16_bf16 v[80:83], a[180:181], a[68:69], v[80:83]// 0000000041EC: D3E10050 1D4289B4
	v_mfma_f32_16x16x16_bf16 v[80:83], a[182:183], a[70:71], v[80:83]// 0000000041F4: D3E10050 1D428DB6
	v_mfma_f32_16x16x16_bf16 v[84:87], a[176:177], a[72:73], v[84:87]// 0000000041FC: D3E10054 1D5291B0
	v_mfma_f32_16x16x16_bf16 v[84:87], a[178:179], a[74:75], v[84:87]// 000000004204: D3E10054 1D5295B2
	v_mfma_f32_16x16x16_bf16 v[84:87], a[180:181], a[76:77], v[84:87]// 00000000420C: D3E10054 1D5299B4
	v_mfma_f32_16x16x16_bf16 v[84:87], a[182:183], a[78:79], v[84:87]// 000000004214: D3E10054 1D529DB6
	s_addk_i32 s33, 0x40                                       // 00000000421C: B7210040
	s_cmp_lt_i32 s33, s34                                      // 000000004220: BF042221
	s_cbranch_scc0 label_0DC8                                  // 000000004224: BF8407BE
	s_waitcnt vmcnt(22) lgkmcnt(0)                             // 000000004228: BF8C4076
	s_barrier                                                  // 00000000422C: BF8A0000
	v_mfma_f32_16x16x16_bf16 v[48:51], a[160:161], a[80:81], v[48:51]// 000000004230: D3E10030 1CC2A1A0
	s_add_u32 m0, 0, s46                                       // 000000004238: 807C2E80
	buffer_load_dword v23, s[4:7], 0 offen lds                 // 00000000423C: E0511000 80010017
	v_mfma_f32_16x16x16_bf16 v[48:51], a[162:163], a[82:83], v[48:51]// 000000004244: D3E10030 1CC2A5A2
	s_add_u32 m0, 0x100, s46                                   // 00000000424C: 807C2EFF 00000100
	buffer_load_dword v24, s[4:7], 0 offen lds                 // 000000004254: E0511000 80010018
	ds_read_b128 a[0:3], v43 offset:20608                      // 00000000425C: DBFE5080 0000002B
	ds_read_b128 a[4:7], v43 offset:20672                      // 000000004264: DBFE50C0 0400002B
	v_mfma_f32_16x16x16_bf16 v[48:51], a[164:165], a[84:85], v[48:51]// 00000000426C: D3E10030 1CC2A9A4
	s_add_u32 m0, 0x200, s46                                   // 000000004274: 807C2EFF 00000200
	buffer_load_dword v25, s[4:7], 0 offen lds                 // 00000000427C: E0511000 80010019
	v_mfma_f32_16x16x16_bf16 v[48:51], a[166:167], a[86:87], v[48:51]// 000000004284: D3E10030 1CC2ADA6
	s_add_u32 m0, 0x300, s46                                   // 00000000428C: 807C2EFF 00000300
	buffer_load_dword v26, s[4:7], 0 offen lds                 // 000000004294: E0511000 8001001A
	ds_read_b128 a[8:11], v43 offset:21120                     // 00000000429C: DBFE5280 0800002B
	ds_read_b128 a[12:15], v43 offset:21184                    // 0000000042A4: DBFE52C0 0C00002B
	v_mfma_f32_16x16x16_bf16 v[52:55], a[160:161], a[88:89], v[52:55]// 0000000042AC: D3E10034 1CD2B1A0
	s_add_u32 m0, 0x400, s46                                   // 0000000042B4: 807C2EFF 00000400
	buffer_load_dword v27, s[4:7], 0 offen lds                 // 0000000042BC: E0511000 8001001B
	v_mfma_f32_16x16x16_bf16 v[52:55], a[162:163], a[90:91], v[52:55]// 0000000042C4: D3E10034 1CD2B5A2
	s_add_u32 m0, 0x500, s46                                   // 0000000042CC: 807C2EFF 00000500
	buffer_load_dword v28, s[4:7], 0 offen lds                 // 0000000042D4: E0511000 8001001C
	ds_read_b128 a[16:19], v43 offset:21632                    // 0000000042DC: DBFE5480 1000002B
	ds_read_b128 a[20:23], v43 offset:21696                    // 0000000042E4: DBFE54C0 1400002B
	v_mfma_f32_16x16x16_bf16 v[52:55], a[164:165], a[92:93], v[52:55]// 0000000042EC: D3E10034 1CD2B9A4
	s_add_u32 m0, 0x600, s46                                   // 0000000042F4: 807C2EFF 00000600
	buffer_load_dword v29, s[4:7], 0 offen lds                 // 0000000042FC: E0511000 8001001D
	v_mfma_f32_16x16x16_bf16 v[52:55], a[166:167], a[94:95], v[52:55]// 000000004304: D3E10034 1CD2BDA6
	s_add_u32 m0, 0x700, s46                                   // 00000000430C: 807C2EFF 00000700
	buffer_load_dword v30, s[4:7], 0 offen lds                 // 000000004314: E0511000 8001001E
	ds_read_b128 a[24:27], v43 offset:22144                    // 00000000431C: DBFE5680 1800002B
	ds_read_b128 a[28:31], v43 offset:22208                    // 000000004324: DBFE56C0 1C00002B
	v_mfma_f32_16x16x16_bf16 v[56:59], a[160:161], a[96:97], v[56:59]// 00000000432C: D3E10038 1CE2C1A0
	s_add_u32 m0, 0x800, s46                                   // 000000004334: 807C2EFF 00000800
	buffer_load_dword v31, s[4:7], 0 offen lds                 // 00000000433C: E0511000 8001001F
	v_mfma_f32_16x16x16_bf16 v[56:59], a[162:163], a[98:99], v[56:59]// 000000004344: D3E10038 1CE2C5A2
	s_add_u32 m0, 0x900, s46                                   // 00000000434C: 807C2EFF 00000900
	buffer_load_dword v32, s[4:7], 0 offen lds                 // 000000004354: E0511000 80010020
	ds_read_b128 a[32:35], v43 offset:22656                    // 00000000435C: DBFE5880 2000002B
	ds_read_b128 a[36:39], v43 offset:22720                    // 000000004364: DBFE58C0 2400002B
	v_mfma_f32_16x16x16_bf16 v[56:59], a[164:165], a[100:101], v[56:59]// 00000000436C: D3E10038 1CE2C9A4
	s_add_u32 m0, 0xa00, s46                                   // 000000004374: 807C2EFF 00000A00
	buffer_load_dword v33, s[4:7], 0 offen lds                 // 00000000437C: E0511000 80010021
	v_mfma_f32_16x16x16_bf16 v[56:59], a[166:167], a[102:103], v[56:59]// 000000004384: D3E10038 1CE2CDA6
	s_add_u32 m0, 0xb00, s46                                   // 00000000438C: 807C2EFF 00000B00
	buffer_load_dword v34, s[4:7], 0 offen lds                 // 000000004394: E0511000 80010022
	ds_read_b128 a[40:43], v43 offset:23168                    // 00000000439C: DBFE5A80 2800002B
	ds_read_b128 a[44:47], v43 offset:23232                    // 0000000043A4: DBFE5AC0 2C00002B
	v_mfma_f32_16x16x16_bf16 v[60:63], a[160:161], a[104:105], v[60:63]// 0000000043AC: D3E1003C 1CF2D1A0
	s_add_u32 m0, 0xc00, s46                                   // 0000000043B4: 807C2EFF 00000C00
	buffer_load_dword v35, s[4:7], 0 offen lds                 // 0000000043BC: E0511000 80010023
	v_mfma_f32_16x16x16_bf16 v[60:63], a[162:163], a[106:107], v[60:63]// 0000000043C4: D3E1003C 1CF2D5A2
	s_add_u32 m0, 0xd00, s46                                   // 0000000043CC: 807C2EFF 00000D00
	buffer_load_dword v36, s[4:7], 0 offen lds                 // 0000000043D4: E0511000 80010024
	ds_read_b128 a[48:51], v43 offset:23680                    // 0000000043DC: DBFE5C80 3000002B
	ds_read_b128 a[52:55], v43 offset:23744                    // 0000000043E4: DBFE5CC0 3400002B
	v_mfma_f32_16x16x16_bf16 v[60:63], a[164:165], a[108:109], v[60:63]// 0000000043EC: D3E1003C 1CF2D9A4
	s_add_u32 m0, 0xe00, s46                                   // 0000000043F4: 807C2EFF 00000E00
	buffer_load_dword v37, s[4:7], 0 offen lds                 // 0000000043FC: E0511000 80010025
	v_mfma_f32_16x16x16_bf16 v[60:63], a[166:167], a[110:111], v[60:63]// 000000004404: D3E1003C 1CF2DDA6
	s_add_u32 m0, 0xf00, s46                                   // 00000000440C: 807C2EFF 00000F00
	buffer_load_dword v38, s[4:7], 0 offen lds                 // 000000004414: E0511000 80010026
	ds_read_b128 a[56:59], v43 offset:24192                    // 00000000441C: DBFE5E80 3800002B
	ds_read_b128 a[60:63], v43 offset:24256                    // 000000004424: DBFE5EC0 3C00002B
	v_mfma_f32_16x16x16_bf16 v[64:67], a[160:161], a[112:113], v[64:67]// 00000000442C: D3E10040 1D02E1A0
	s_add_u32 m0, 0x1000, s46                                  // 000000004434: 807C2EFF 00001000
	buffer_load_dword v39, s[4:7], 0 offen lds                 // 00000000443C: E0511000 80010027
	v_mfma_f32_16x16x16_bf16 v[64:67], a[162:163], a[114:115], v[64:67]// 000000004444: D3E10040 1D02E5A2
	s_add_u32 m0, 0x1100, s46                                  // 00000000444C: 807C2EFF 00001100
	buffer_load_dword v40, s[4:7], 0 offen lds                 // 000000004454: E0511000 80010028
	ds_read_b128 a[64:67], v43 offset:24704                    // 00000000445C: DBFE6080 4000002B
	ds_read_b128 a[68:71], v43 offset:24768                    // 000000004464: DBFE60C0 4400002B
	v_mfma_f32_16x16x16_bf16 v[64:67], a[164:165], a[116:117], v[64:67]// 00000000446C: D3E10040 1D02E9A4
	s_add_u32 m0, 0x1200, s46                                  // 000000004474: 807C2EFF 00001200
	buffer_load_dword v41, s[4:7], 0 offen lds                 // 00000000447C: E0511000 80010029
	v_mfma_f32_16x16x16_bf16 v[64:67], a[166:167], a[118:119], v[64:67]// 000000004484: D3E10040 1D02EDA6
	s_add_u32 m0, 0x1300, s46                                  // 00000000448C: 807C2EFF 00001300
	buffer_load_dword v42, s[4:7], 0 offen lds                 // 000000004494: E0511000 8001002A
	ds_read_b128 a[72:75], v43 offset:25216                    // 00000000449C: DBFE6280 4800002B
	ds_read_b128 a[76:79], v43 offset:25280                    // 0000000044A4: DBFE62C0 4C00002B
	v_mfma_f32_16x16x16_bf16 v[68:71], a[160:161], a[120:121], v[68:71]// 0000000044AC: D3E10044 1D12F1A0
	s_add_u32 s31, 0x100, s33                                  // 0000000044B4: 801F21FF 00000100
	s_cmp_lt_u32 s31, s34                                      // 0000000044BC: BF0A221F
	s_cselect_b32 s44, s44, 0                                  // 0000000044C0: 852C802C
	buffer_load_dwordx4 a[176:179], v44, s[8:11], 0 offen      // 0000000044C4: E05C1000 8082B02C
	v_mfma_f32_16x16x16_bf16 v[68:71], a[162:163], a[122:123], v[68:71]// 0000000044CC: D3E10044 1D12F5A2
	buffer_load_dwordx4 a[180:183], v45, s[8:11], 0 offen      // 0000000044D4: E05C1000 8082B42D
	s_add_u32 s4, s44, s4                                      // 0000000044DC: 8004042C
	s_addc_u32 s5, 0, s5                                       // 0000000044E0: 82050580
	v_mfma_f32_16x16x16_bf16 v[68:71], a[164:165], a[124:125], v[68:71]// 0000000044E4: D3E10044 1D12F9A4
	s_add_u32 s31, 0xc0, s33                                   // 0000000044EC: 801F21FF 000000C0
	s_cmp_lt_u32 s31, s34                                      // 0000000044F4: BF0A221F
	s_cselect_b32 s45, s45, 0                                  // 0000000044F8: 852D802D
	v_mfma_f32_16x16x16_bf16 v[68:71], a[166:167], a[126:127], v[68:71]// 0000000044FC: D3E10044 1D12FDA6
	s_add_u32 s8, s45, s8                                      // 000000004504: 8008082D
	s_addc_u32 s9, 0, s9                                       // 000000004508: 82090980
	v_mfma_f32_16x16x16_bf16 v[72:75], a[160:161], a[128:129], v[72:75]// 00000000450C: D3E10048 1D2301A0
	v_mfma_f32_16x16x16_bf16 v[72:75], a[162:163], a[130:131], v[72:75]// 000000004514: D3E10048 1D2305A2
	v_mfma_f32_16x16x16_bf16 v[72:75], a[164:165], a[132:133], v[72:75]// 00000000451C: D3E10048 1D2309A4
	v_mfma_f32_16x16x16_bf16 v[72:75], a[166:167], a[134:135], v[72:75]// 000000004524: D3E10048 1D230DA6
	v_mfma_f32_16x16x16_bf16 v[76:79], a[160:161], a[136:137], v[76:79]// 00000000452C: D3E1004C 1D3311A0
	v_mfma_f32_16x16x16_bf16 v[76:79], a[162:163], a[138:139], v[76:79]// 000000004534: D3E1004C 1D3315A2
	v_mfma_f32_16x16x16_bf16 v[76:79], a[164:165], a[140:141], v[76:79]// 00000000453C: D3E1004C 1D3319A4
	v_mfma_f32_16x16x16_bf16 v[76:79], a[166:167], a[142:143], v[76:79]// 000000004544: D3E1004C 1D331DA6
	v_mfma_f32_16x16x16_bf16 v[80:83], a[160:161], a[144:145], v[80:83]// 00000000454C: D3E10050 1D4321A0
	v_mfma_f32_16x16x16_bf16 v[80:83], a[162:163], a[146:147], v[80:83]// 000000004554: D3E10050 1D4325A2
	v_mfma_f32_16x16x16_bf16 v[80:83], a[164:165], a[148:149], v[80:83]// 00000000455C: D3E10050 1D4329A4
	v_mfma_f32_16x16x16_bf16 v[80:83], a[166:167], a[150:151], v[80:83]// 000000004564: D3E10050 1D432DA6
	v_mfma_f32_16x16x16_bf16 v[84:87], a[160:161], a[152:153], v[84:87]// 00000000456C: D3E10054 1D5331A0
	v_mfma_f32_16x16x16_bf16 v[84:87], a[162:163], a[154:155], v[84:87]// 000000004574: D3E10054 1D5335A2
	v_mfma_f32_16x16x16_bf16 v[84:87], a[164:165], a[156:157], v[84:87]// 00000000457C: D3E10054 1D5339A4
	v_mfma_f32_16x16x16_bf16 v[84:87], a[166:167], a[158:159], v[84:87]// 000000004584: D3E10054 1D533DA6
	s_addk_i32 s33, 0x40                                       // 00000000458C: B7210040
	s_cmp_lt_i32 s33, s34                                      // 000000004590: BF042221
	s_cbranch_scc0 label_0DC8                                  // 000000004594: BF8406E2
	s_waitcnt vmcnt(22) lgkmcnt(0)                             // 000000004598: BF8C4076
	s_barrier                                                  // 00000000459C: BF8A0000
	v_mfma_f32_16x16x16_bf16 v[48:51], a[168:169], a[0:1], v[48:51]// 0000000045A0: D3E10030 1CC201A8
	s_add_u32 m0, 0, s47                                       // 0000000045A8: 807C2F80
	buffer_load_dword v23, s[4:7], 0 offen lds                 // 0000000045AC: E0511000 80010017
	v_mfma_f32_16x16x16_bf16 v[48:51], a[170:171], a[2:3], v[48:51]// 0000000045B4: D3E10030 1CC205AA
	s_add_u32 m0, 0x100, s47                                   // 0000000045BC: 807C2FFF 00000100
	buffer_load_dword v24, s[4:7], 0 offen lds                 // 0000000045C4: E0511000 80010018
	ds_read_b128 a[80:83], v43 offset:41216                    // 0000000045CC: DBFEA100 5000002B
	ds_read_b128 a[84:87], v43 offset:41280                    // 0000000045D4: DBFEA140 5400002B
	v_mfma_f32_16x16x16_bf16 v[48:51], a[172:173], a[4:5], v[48:51]// 0000000045DC: D3E10030 1CC209AC
	s_add_u32 m0, 0x200, s47                                   // 0000000045E4: 807C2FFF 00000200
	buffer_load_dword v25, s[4:7], 0 offen lds                 // 0000000045EC: E0511000 80010019
	v_mfma_f32_16x16x16_bf16 v[48:51], a[174:175], a[6:7], v[48:51]// 0000000045F4: D3E10030 1CC20DAE
	s_add_u32 m0, 0x300, s47                                   // 0000000045FC: 807C2FFF 00000300
	buffer_load_dword v26, s[4:7], 0 offen lds                 // 000000004604: E0511000 8001001A
	ds_read_b128 a[88:91], v43 offset:41728                    // 00000000460C: DBFEA300 5800002B
	ds_read_b128 a[92:95], v43 offset:41792                    // 000000004614: DBFEA340 5C00002B
	v_mfma_f32_16x16x16_bf16 v[52:55], a[168:169], a[8:9], v[52:55]// 00000000461C: D3E10034 1CD211A8
	s_add_u32 m0, 0x400, s47                                   // 000000004624: 807C2FFF 00000400
	buffer_load_dword v27, s[4:7], 0 offen lds                 // 00000000462C: E0511000 8001001B
	v_mfma_f32_16x16x16_bf16 v[52:55], a[170:171], a[10:11], v[52:55]// 000000004634: D3E10034 1CD215AA
	s_add_u32 m0, 0x500, s47                                   // 00000000463C: 807C2FFF 00000500
	buffer_load_dword v28, s[4:7], 0 offen lds                 // 000000004644: E0511000 8001001C
	ds_read_b128 a[96:99], v43 offset:42240                    // 00000000464C: DBFEA500 6000002B
	ds_read_b128 a[100:103], v43 offset:42304                  // 000000004654: DBFEA540 6400002B
	v_mfma_f32_16x16x16_bf16 v[52:55], a[172:173], a[12:13], v[52:55]// 00000000465C: D3E10034 1CD219AC
	s_add_u32 m0, 0x600, s47                                   // 000000004664: 807C2FFF 00000600
	buffer_load_dword v29, s[4:7], 0 offen lds                 // 00000000466C: E0511000 8001001D
	v_mfma_f32_16x16x16_bf16 v[52:55], a[174:175], a[14:15], v[52:55]// 000000004674: D3E10034 1CD21DAE
	s_add_u32 m0, 0x700, s47                                   // 00000000467C: 807C2FFF 00000700
	buffer_load_dword v30, s[4:7], 0 offen lds                 // 000000004684: E0511000 8001001E
	ds_read_b128 a[104:107], v43 offset:42752                  // 00000000468C: DBFEA700 6800002B
	ds_read_b128 a[108:111], v43 offset:42816                  // 000000004694: DBFEA740 6C00002B
	v_mfma_f32_16x16x16_bf16 v[56:59], a[168:169], a[16:17], v[56:59]// 00000000469C: D3E10038 1CE221A8
	s_add_u32 m0, 0x800, s47                                   // 0000000046A4: 807C2FFF 00000800
	buffer_load_dword v31, s[4:7], 0 offen lds                 // 0000000046AC: E0511000 8001001F
	v_mfma_f32_16x16x16_bf16 v[56:59], a[170:171], a[18:19], v[56:59]// 0000000046B4: D3E10038 1CE225AA
	s_add_u32 m0, 0x900, s47                                   // 0000000046BC: 807C2FFF 00000900
	buffer_load_dword v32, s[4:7], 0 offen lds                 // 0000000046C4: E0511000 80010020
	ds_read_b128 a[112:115], v43 offset:43264                  // 0000000046CC: DBFEA900 7000002B
	ds_read_b128 a[116:119], v43 offset:43328                  // 0000000046D4: DBFEA940 7400002B
	v_mfma_f32_16x16x16_bf16 v[56:59], a[172:173], a[20:21], v[56:59]// 0000000046DC: D3E10038 1CE229AC
	s_add_u32 m0, 0xa00, s47                                   // 0000000046E4: 807C2FFF 00000A00
	buffer_load_dword v33, s[4:7], 0 offen lds                 // 0000000046EC: E0511000 80010021
	v_mfma_f32_16x16x16_bf16 v[56:59], a[174:175], a[22:23], v[56:59]// 0000000046F4: D3E10038 1CE22DAE
	s_add_u32 m0, 0xb00, s47                                   // 0000000046FC: 807C2FFF 00000B00
	buffer_load_dword v34, s[4:7], 0 offen lds                 // 000000004704: E0511000 80010022
	ds_read_b128 a[120:123], v43 offset:43776                  // 00000000470C: DBFEAB00 7800002B
	ds_read_b128 a[124:127], v43 offset:43840                  // 000000004714: DBFEAB40 7C00002B
	v_mfma_f32_16x16x16_bf16 v[60:63], a[168:169], a[24:25], v[60:63]// 00000000471C: D3E1003C 1CF231A8
	s_add_u32 m0, 0xc00, s47                                   // 000000004724: 807C2FFF 00000C00
	buffer_load_dword v35, s[4:7], 0 offen lds                 // 00000000472C: E0511000 80010023
	v_mfma_f32_16x16x16_bf16 v[60:63], a[170:171], a[26:27], v[60:63]// 000000004734: D3E1003C 1CF235AA
	s_add_u32 m0, 0xd00, s47                                   // 00000000473C: 807C2FFF 00000D00
	buffer_load_dword v36, s[4:7], 0 offen lds                 // 000000004744: E0511000 80010024
	ds_read_b128 a[128:131], v43 offset:44288                  // 00000000474C: DBFEAD00 8000002B
	ds_read_b128 a[132:135], v43 offset:44352                  // 000000004754: DBFEAD40 8400002B
	v_mfma_f32_16x16x16_bf16 v[60:63], a[172:173], a[28:29], v[60:63]// 00000000475C: D3E1003C 1CF239AC
	s_add_u32 m0, 0xe00, s47                                   // 000000004764: 807C2FFF 00000E00
	buffer_load_dword v37, s[4:7], 0 offen lds                 // 00000000476C: E0511000 80010025
	v_mfma_f32_16x16x16_bf16 v[60:63], a[174:175], a[30:31], v[60:63]// 000000004774: D3E1003C 1CF23DAE
	s_add_u32 m0, 0xf00, s47                                   // 00000000477C: 807C2FFF 00000F00
	buffer_load_dword v38, s[4:7], 0 offen lds                 // 000000004784: E0511000 80010026
	ds_read_b128 a[136:139], v43 offset:44800                  // 00000000478C: DBFEAF00 8800002B
	ds_read_b128 a[140:143], v43 offset:44864                  // 000000004794: DBFEAF40 8C00002B
	v_mfma_f32_16x16x16_bf16 v[64:67], a[168:169], a[32:33], v[64:67]// 00000000479C: D3E10040 1D0241A8
	s_add_u32 m0, 0x1000, s47                                  // 0000000047A4: 807C2FFF 00001000
	buffer_load_dword v39, s[4:7], 0 offen lds                 // 0000000047AC: E0511000 80010027
	v_mfma_f32_16x16x16_bf16 v[64:67], a[170:171], a[34:35], v[64:67]// 0000000047B4: D3E10040 1D0245AA
	s_add_u32 m0, 0x1100, s47                                  // 0000000047BC: 807C2FFF 00001100
	buffer_load_dword v40, s[4:7], 0 offen lds                 // 0000000047C4: E0511000 80010028
	ds_read_b128 a[144:147], v43 offset:45312                  // 0000000047CC: DBFEB100 9000002B
	ds_read_b128 a[148:151], v43 offset:45376                  // 0000000047D4: DBFEB140 9400002B
	v_mfma_f32_16x16x16_bf16 v[64:67], a[172:173], a[36:37], v[64:67]// 0000000047DC: D3E10040 1D0249AC
	s_add_u32 m0, 0x1200, s47                                  // 0000000047E4: 807C2FFF 00001200
	buffer_load_dword v41, s[4:7], 0 offen lds                 // 0000000047EC: E0511000 80010029
	v_mfma_f32_16x16x16_bf16 v[64:67], a[174:175], a[38:39], v[64:67]// 0000000047F4: D3E10040 1D024DAE
	s_add_u32 m0, 0x1300, s47                                  // 0000000047FC: 807C2FFF 00001300
	buffer_load_dword v42, s[4:7], 0 offen lds                 // 000000004804: E0511000 8001002A
	ds_read_b128 a[152:155], v43 offset:45824                  // 00000000480C: DBFEB300 9800002B
	ds_read_b128 a[156:159], v43 offset:45888                  // 000000004814: DBFEB340 9C00002B
	v_mfma_f32_16x16x16_bf16 v[68:71], a[168:169], a[40:41], v[68:71]// 00000000481C: D3E10044 1D1251A8
	s_add_u32 s31, 0x100, s33                                  // 000000004824: 801F21FF 00000100
	s_cmp_lt_u32 s31, s34                                      // 00000000482C: BF0A221F
	s_cselect_b32 s44, s44, 0                                  // 000000004830: 852C802C
	buffer_load_dwordx4 a[160:163], v44, s[8:11], 0 offen      // 000000004834: E05C1000 8082A02C
	v_mfma_f32_16x16x16_bf16 v[68:71], a[170:171], a[42:43], v[68:71]// 00000000483C: D3E10044 1D1255AA
	buffer_load_dwordx4 a[164:167], v45, s[8:11], 0 offen      // 000000004844: E05C1000 8082A42D
	s_add_u32 s4, s44, s4                                      // 00000000484C: 8004042C
	s_addc_u32 s5, 0, s5                                       // 000000004850: 82050580
	v_mfma_f32_16x16x16_bf16 v[68:71], a[172:173], a[44:45], v[68:71]// 000000004854: D3E10044 1D1259AC
	s_add_u32 s31, 0xc0, s33                                   // 00000000485C: 801F21FF 000000C0
	s_cmp_lt_u32 s31, s34                                      // 000000004864: BF0A221F
	s_cselect_b32 s45, s45, 0                                  // 000000004868: 852D802D
	v_mfma_f32_16x16x16_bf16 v[68:71], a[174:175], a[46:47], v[68:71]// 00000000486C: D3E10044 1D125DAE
	s_add_u32 s8, s45, s8                                      // 000000004874: 8008082D
	s_addc_u32 s9, 0, s9                                       // 000000004878: 82090980
	v_mfma_f32_16x16x16_bf16 v[72:75], a[168:169], a[48:49], v[72:75]// 00000000487C: D3E10048 1D2261A8
	v_mfma_f32_16x16x16_bf16 v[72:75], a[170:171], a[50:51], v[72:75]// 000000004884: D3E10048 1D2265AA
	v_mfma_f32_16x16x16_bf16 v[72:75], a[172:173], a[52:53], v[72:75]// 00000000488C: D3E10048 1D2269AC
	v_mfma_f32_16x16x16_bf16 v[72:75], a[174:175], a[54:55], v[72:75]// 000000004894: D3E10048 1D226DAE
	v_mfma_f32_16x16x16_bf16 v[76:79], a[168:169], a[56:57], v[76:79]// 00000000489C: D3E1004C 1D3271A8
	v_mfma_f32_16x16x16_bf16 v[76:79], a[170:171], a[58:59], v[76:79]// 0000000048A4: D3E1004C 1D3275AA
	v_mfma_f32_16x16x16_bf16 v[76:79], a[172:173], a[60:61], v[76:79]// 0000000048AC: D3E1004C 1D3279AC
	v_mfma_f32_16x16x16_bf16 v[76:79], a[174:175], a[62:63], v[76:79]// 0000000048B4: D3E1004C 1D327DAE
	v_mfma_f32_16x16x16_bf16 v[80:83], a[168:169], a[64:65], v[80:83]// 0000000048BC: D3E10050 1D4281A8
	v_mfma_f32_16x16x16_bf16 v[80:83], a[170:171], a[66:67], v[80:83]// 0000000048C4: D3E10050 1D4285AA
	v_mfma_f32_16x16x16_bf16 v[80:83], a[172:173], a[68:69], v[80:83]// 0000000048CC: D3E10050 1D4289AC
	v_mfma_f32_16x16x16_bf16 v[80:83], a[174:175], a[70:71], v[80:83]// 0000000048D4: D3E10050 1D428DAE
	v_mfma_f32_16x16x16_bf16 v[84:87], a[168:169], a[72:73], v[84:87]// 0000000048DC: D3E10054 1D5291A8
	v_mfma_f32_16x16x16_bf16 v[84:87], a[170:171], a[74:75], v[84:87]// 0000000048E4: D3E10054 1D5295AA
	v_mfma_f32_16x16x16_bf16 v[84:87], a[172:173], a[76:77], v[84:87]// 0000000048EC: D3E10054 1D5299AC
	v_mfma_f32_16x16x16_bf16 v[84:87], a[174:175], a[78:79], v[84:87]// 0000000048F4: D3E10054 1D529DAE
	s_addk_i32 s33, 0x40                                       // 0000000048FC: B7210040
	s_cmp_lt_i32 s33, s34                                      // 000000004900: BF042221
	s_cbranch_scc0 label_0DC8                                  // 000000004904: BF840606
	s_waitcnt vmcnt(22) lgkmcnt(0)                             // 000000004908: BF8C4076
	s_barrier                                                  // 00000000490C: BF8A0000
	v_mfma_f32_16x16x16_bf16 v[48:51], a[176:177], a[80:81], v[48:51]// 000000004910: D3E10030 1CC2A1B0
	s_add_u32 m0, 0, s48                                       // 000000004918: 807C3080
	buffer_load_dword v23, s[4:7], 0 offen lds                 // 00000000491C: E0511000 80010017
	v_mfma_f32_16x16x16_bf16 v[48:51], a[178:179], a[82:83], v[48:51]// 000000004924: D3E10030 1CC2A5B2
	s_add_u32 m0, 0x100, s48                                   // 00000000492C: 807C30FF 00000100
	buffer_load_dword v24, s[4:7], 0 offen lds                 // 000000004934: E0511000 80010018
	ds_read_b128 a[0:3], v43                                   // 00000000493C: DBFE0000 0000002B
	ds_read_b128 a[4:7], v43 offset:64                         // 000000004944: DBFE0040 0400002B
	v_mfma_f32_16x16x16_bf16 v[48:51], a[180:181], a[84:85], v[48:51]// 00000000494C: D3E10030 1CC2A9B4
	s_add_u32 m0, 0x200, s48                                   // 000000004954: 807C30FF 00000200
	buffer_load_dword v25, s[4:7], 0 offen lds                 // 00000000495C: E0511000 80010019
	v_mfma_f32_16x16x16_bf16 v[48:51], a[182:183], a[86:87], v[48:51]// 000000004964: D3E10030 1CC2ADB6
	s_add_u32 m0, 0x300, s48                                   // 00000000496C: 807C30FF 00000300
	buffer_load_dword v26, s[4:7], 0 offen lds                 // 000000004974: E0511000 8001001A
	ds_read_b128 a[8:11], v43 offset:512                       // 00000000497C: DBFE0200 0800002B
	ds_read_b128 a[12:15], v43 offset:576                      // 000000004984: DBFE0240 0C00002B
	v_mfma_f32_16x16x16_bf16 v[52:55], a[176:177], a[88:89], v[52:55]// 00000000498C: D3E10034 1CD2B1B0
	s_add_u32 m0, 0x400, s48                                   // 000000004994: 807C30FF 00000400
	buffer_load_dword v27, s[4:7], 0 offen lds                 // 00000000499C: E0511000 8001001B
	v_mfma_f32_16x16x16_bf16 v[52:55], a[178:179], a[90:91], v[52:55]// 0000000049A4: D3E10034 1CD2B5B2
	s_add_u32 m0, 0x500, s48                                   // 0000000049AC: 807C30FF 00000500
	buffer_load_dword v28, s[4:7], 0 offen lds                 // 0000000049B4: E0511000 8001001C
	ds_read_b128 a[16:19], v43 offset:1024                     // 0000000049BC: DBFE0400 1000002B
	ds_read_b128 a[20:23], v43 offset:1088                     // 0000000049C4: DBFE0440 1400002B
	v_mfma_f32_16x16x16_bf16 v[52:55], a[180:181], a[92:93], v[52:55]// 0000000049CC: D3E10034 1CD2B9B4
	s_add_u32 m0, 0x600, s48                                   // 0000000049D4: 807C30FF 00000600
	buffer_load_dword v29, s[4:7], 0 offen lds                 // 0000000049DC: E0511000 8001001D
	v_mfma_f32_16x16x16_bf16 v[52:55], a[182:183], a[94:95], v[52:55]// 0000000049E4: D3E10034 1CD2BDB6
	s_add_u32 m0, 0x700, s48                                   // 0000000049EC: 807C30FF 00000700
	buffer_load_dword v30, s[4:7], 0 offen lds                 // 0000000049F4: E0511000 8001001E
	ds_read_b128 a[24:27], v43 offset:1536                     // 0000000049FC: DBFE0600 1800002B
	ds_read_b128 a[28:31], v43 offset:1600                     // 000000004A04: DBFE0640 1C00002B
	v_mfma_f32_16x16x16_bf16 v[56:59], a[176:177], a[96:97], v[56:59]// 000000004A0C: D3E10038 1CE2C1B0
	s_add_u32 m0, 0x800, s48                                   // 000000004A14: 807C30FF 00000800
	buffer_load_dword v31, s[4:7], 0 offen lds                 // 000000004A1C: E0511000 8001001F
	v_mfma_f32_16x16x16_bf16 v[56:59], a[178:179], a[98:99], v[56:59]// 000000004A24: D3E10038 1CE2C5B2
	s_add_u32 m0, 0x900, s48                                   // 000000004A2C: 807C30FF 00000900
	buffer_load_dword v32, s[4:7], 0 offen lds                 // 000000004A34: E0511000 80010020
	ds_read_b128 a[32:35], v43 offset:2048                     // 000000004A3C: DBFE0800 2000002B
	ds_read_b128 a[36:39], v43 offset:2112                     // 000000004A44: DBFE0840 2400002B
	v_mfma_f32_16x16x16_bf16 v[56:59], a[180:181], a[100:101], v[56:59]// 000000004A4C: D3E10038 1CE2C9B4
	s_add_u32 m0, 0xa00, s48                                   // 000000004A54: 807C30FF 00000A00
	buffer_load_dword v33, s[4:7], 0 offen lds                 // 000000004A5C: E0511000 80010021
	v_mfma_f32_16x16x16_bf16 v[56:59], a[182:183], a[102:103], v[56:59]// 000000004A64: D3E10038 1CE2CDB6
	s_add_u32 m0, 0xb00, s48                                   // 000000004A6C: 807C30FF 00000B00
	buffer_load_dword v34, s[4:7], 0 offen lds                 // 000000004A74: E0511000 80010022
	ds_read_b128 a[40:43], v43 offset:2560                     // 000000004A7C: DBFE0A00 2800002B
	ds_read_b128 a[44:47], v43 offset:2624                     // 000000004A84: DBFE0A40 2C00002B
	v_mfma_f32_16x16x16_bf16 v[60:63], a[176:177], a[104:105], v[60:63]// 000000004A8C: D3E1003C 1CF2D1B0
	s_add_u32 m0, 0xc00, s48                                   // 000000004A94: 807C30FF 00000C00
	buffer_load_dword v35, s[4:7], 0 offen lds                 // 000000004A9C: E0511000 80010023
	v_mfma_f32_16x16x16_bf16 v[60:63], a[178:179], a[106:107], v[60:63]// 000000004AA4: D3E1003C 1CF2D5B2
	s_add_u32 m0, 0xd00, s48                                   // 000000004AAC: 807C30FF 00000D00
	buffer_load_dword v36, s[4:7], 0 offen lds                 // 000000004AB4: E0511000 80010024
	ds_read_b128 a[48:51], v43 offset:3072                     // 000000004ABC: DBFE0C00 3000002B
	ds_read_b128 a[52:55], v43 offset:3136                     // 000000004AC4: DBFE0C40 3400002B
	v_mfma_f32_16x16x16_bf16 v[60:63], a[180:181], a[108:109], v[60:63]// 000000004ACC: D3E1003C 1CF2D9B4
	s_add_u32 m0, 0xe00, s48                                   // 000000004AD4: 807C30FF 00000E00
	buffer_load_dword v37, s[4:7], 0 offen lds                 // 000000004ADC: E0511000 80010025
	v_mfma_f32_16x16x16_bf16 v[60:63], a[182:183], a[110:111], v[60:63]// 000000004AE4: D3E1003C 1CF2DDB6
	s_add_u32 m0, 0xf00, s48                                   // 000000004AEC: 807C30FF 00000F00
	buffer_load_dword v38, s[4:7], 0 offen lds                 // 000000004AF4: E0511000 80010026
	ds_read_b128 a[56:59], v43 offset:3584                     // 000000004AFC: DBFE0E00 3800002B
	ds_read_b128 a[60:63], v43 offset:3648                     // 000000004B04: DBFE0E40 3C00002B
	v_mfma_f32_16x16x16_bf16 v[64:67], a[176:177], a[112:113], v[64:67]// 000000004B0C: D3E10040 1D02E1B0
	s_add_u32 m0, 0x1000, s48                                  // 000000004B14: 807C30FF 00001000
	buffer_load_dword v39, s[4:7], 0 offen lds                 // 000000004B1C: E0511000 80010027
	v_mfma_f32_16x16x16_bf16 v[64:67], a[178:179], a[114:115], v[64:67]// 000000004B24: D3E10040 1D02E5B2
	s_add_u32 m0, 0x1100, s48                                  // 000000004B2C: 807C30FF 00001100
	buffer_load_dword v40, s[4:7], 0 offen lds                 // 000000004B34: E0511000 80010028
	ds_read_b128 a[64:67], v43 offset:4096                     // 000000004B3C: DBFE1000 4000002B
	ds_read_b128 a[68:71], v43 offset:4160                     // 000000004B44: DBFE1040 4400002B
	v_mfma_f32_16x16x16_bf16 v[64:67], a[180:181], a[116:117], v[64:67]// 000000004B4C: D3E10040 1D02E9B4
	s_add_u32 m0, 0x1200, s48                                  // 000000004B54: 807C30FF 00001200
	buffer_load_dword v41, s[4:7], 0 offen lds                 // 000000004B5C: E0511000 80010029
	v_mfma_f32_16x16x16_bf16 v[64:67], a[182:183], a[118:119], v[64:67]// 000000004B64: D3E10040 1D02EDB6
	s_add_u32 m0, 0x1300, s48                                  // 000000004B6C: 807C30FF 00001300
	buffer_load_dword v42, s[4:7], 0 offen lds                 // 000000004B74: E0511000 8001002A
	ds_read_b128 a[72:75], v43 offset:4608                     // 000000004B7C: DBFE1200 4800002B
	ds_read_b128 a[76:79], v43 offset:4672                     // 000000004B84: DBFE1240 4C00002B
	v_mfma_f32_16x16x16_bf16 v[68:71], a[176:177], a[120:121], v[68:71]// 000000004B8C: D3E10044 1D12F1B0
	s_add_u32 s31, 0x100, s33                                  // 000000004B94: 801F21FF 00000100
	s_cmp_lt_u32 s31, s34                                      // 000000004B9C: BF0A221F
	s_cselect_b32 s44, s44, 0                                  // 000000004BA0: 852C802C
	buffer_load_dwordx4 a[168:171], v44, s[8:11], 0 offen      // 000000004BA4: E05C1000 8082A82C
	v_mfma_f32_16x16x16_bf16 v[68:71], a[178:179], a[122:123], v[68:71]// 000000004BAC: D3E10044 1D12F5B2
	buffer_load_dwordx4 a[172:175], v45, s[8:11], 0 offen      // 000000004BB4: E05C1000 8082AC2D
	s_add_u32 s4, s44, s4                                      // 000000004BBC: 8004042C
	s_addc_u32 s5, 0, s5                                       // 000000004BC0: 82050580
	v_mfma_f32_16x16x16_bf16 v[68:71], a[180:181], a[124:125], v[68:71]// 000000004BC4: D3E10044 1D12F9B4
	s_add_u32 s31, 0xc0, s33                                   // 000000004BCC: 801F21FF 000000C0
	s_cmp_lt_u32 s31, s34                                      // 000000004BD4: BF0A221F
	s_cselect_b32 s45, s45, 0                                  // 000000004BD8: 852D802D
	v_mfma_f32_16x16x16_bf16 v[68:71], a[182:183], a[126:127], v[68:71]// 000000004BDC: D3E10044 1D12FDB6
	s_add_u32 s8, s45, s8                                      // 000000004BE4: 8008082D
	s_addc_u32 s9, 0, s9                                       // 000000004BE8: 82090980
	v_mfma_f32_16x16x16_bf16 v[72:75], a[176:177], a[128:129], v[72:75]// 000000004BEC: D3E10048 1D2301B0
	v_mfma_f32_16x16x16_bf16 v[72:75], a[178:179], a[130:131], v[72:75]// 000000004BF4: D3E10048 1D2305B2
	v_mfma_f32_16x16x16_bf16 v[72:75], a[180:181], a[132:133], v[72:75]// 000000004BFC: D3E10048 1D2309B4
	v_mfma_f32_16x16x16_bf16 v[72:75], a[182:183], a[134:135], v[72:75]// 000000004C04: D3E10048 1D230DB6
	v_mfma_f32_16x16x16_bf16 v[76:79], a[176:177], a[136:137], v[76:79]// 000000004C0C: D3E1004C 1D3311B0
	v_mfma_f32_16x16x16_bf16 v[76:79], a[178:179], a[138:139], v[76:79]// 000000004C14: D3E1004C 1D3315B2
	v_mfma_f32_16x16x16_bf16 v[76:79], a[180:181], a[140:141], v[76:79]// 000000004C1C: D3E1004C 1D3319B4
	v_mfma_f32_16x16x16_bf16 v[76:79], a[182:183], a[142:143], v[76:79]// 000000004C24: D3E1004C 1D331DB6
	v_mfma_f32_16x16x16_bf16 v[80:83], a[176:177], a[144:145], v[80:83]// 000000004C2C: D3E10050 1D4321B0
	v_mfma_f32_16x16x16_bf16 v[80:83], a[178:179], a[146:147], v[80:83]// 000000004C34: D3E10050 1D4325B2
	v_mfma_f32_16x16x16_bf16 v[80:83], a[180:181], a[148:149], v[80:83]// 000000004C3C: D3E10050 1D4329B4
	v_mfma_f32_16x16x16_bf16 v[80:83], a[182:183], a[150:151], v[80:83]// 000000004C44: D3E10050 1D432DB6
	v_mfma_f32_16x16x16_bf16 v[84:87], a[176:177], a[152:153], v[84:87]// 000000004C4C: D3E10054 1D5331B0
	v_mfma_f32_16x16x16_bf16 v[84:87], a[178:179], a[154:155], v[84:87]// 000000004C54: D3E10054 1D5335B2
	v_mfma_f32_16x16x16_bf16 v[84:87], a[180:181], a[156:157], v[84:87]// 000000004C5C: D3E10054 1D5339B4
	v_mfma_f32_16x16x16_bf16 v[84:87], a[182:183], a[158:159], v[84:87]// 000000004C64: D3E10054 1D533DB6
	s_addk_i32 s33, 0x40                                       // 000000004C6C: B7210040
	s_cmp_lt_i32 s33, s34                                      // 000000004C70: BF042221
	s_cbranch_scc0 label_0DC8                                  // 000000004C74: BF84052A
	s_branch label_0376                                        // 000000004C78: BF82FAD7

0000000000004c7c <label_089F>:
	s_waitcnt vmcnt(22) lgkmcnt(0)                             // 000000004C7C: BF8C4076
	s_barrier                                                  // 000000004C80: BF8A0000
	v_mfma_f32_16x16x16_bf16 v[48:51], a[160:161], a[0:1], v[48:51]// 000000004C84: D3E10030 1CC201A0
	s_add_u32 m0, 0, s46                                       // 000000004C8C: 807C2E80
	buffer_load_dword v23, s[4:7], 0 offen lds                 // 000000004C90: E0511000 80010017
	ds_read_b128 a[80:83], v43 offset:20608                    // 000000004C98: DBFE5080 5000002B
	ds_read_b128 a[84:87], v43 offset:20672                    // 000000004CA0: DBFE50C0 5400002B
	v_mfma_f32_16x16x16_bf16 v[48:51], a[162:163], a[2:3], v[48:51]// 000000004CA8: D3E10030 1CC205A2
	s_add_u32 m0, 0x100, s46                                   // 000000004CB0: 807C2EFF 00000100
	buffer_load_dword v24, s[4:7], 0 offen lds                 // 000000004CB8: E0511000 80010018
	v_mfma_f32_16x16x16_bf16 v[48:51], a[164:165], a[4:5], v[48:51]// 000000004CC0: D3E10030 1CC209A4
	s_add_u32 m0, 0x200, s46                                   // 000000004CC8: 807C2EFF 00000200
	buffer_load_dword v25, s[4:7], 0 offen lds                 // 000000004CD0: E0511000 80010019
	ds_read_b128 a[88:91], v43 offset:21120                    // 000000004CD8: DBFE5280 5800002B
	ds_read_b128 a[92:95], v43 offset:21184                    // 000000004CE0: DBFE52C0 5C00002B
	v_mfma_f32_16x16x16_bf16 v[48:51], a[166:167], a[6:7], v[48:51]// 000000004CE8: D3E10030 1CC20DA6
	s_add_u32 m0, 0x300, s46                                   // 000000004CF0: 807C2EFF 00000300
	buffer_load_dword v26, s[4:7], 0 offen lds                 // 000000004CF8: E0511000 8001001A
	v_mfma_f32_16x16x16_bf16 v[52:55], a[160:161], a[8:9], v[52:55]// 000000004D00: D3E10034 1CD211A0
	s_add_u32 m0, 0x400, s46                                   // 000000004D08: 807C2EFF 00000400
	buffer_load_dword v27, s[4:7], 0 offen lds                 // 000000004D10: E0511000 8001001B
	ds_read_b128 a[96:99], v43 offset:21632                    // 000000004D18: DBFE5480 6000002B
	ds_read_b128 a[100:103], v43 offset:21696                  // 000000004D20: DBFE54C0 6400002B
	v_mfma_f32_16x16x16_bf16 v[52:55], a[162:163], a[10:11], v[52:55]// 000000004D28: D3E10034 1CD215A2
	s_add_u32 m0, 0x500, s46                                   // 000000004D30: 807C2EFF 00000500
	buffer_load_dword v28, s[4:7], 0 offen lds                 // 000000004D38: E0511000 8001001C
	v_mfma_f32_16x16x16_bf16 v[52:55], a[164:165], a[12:13], v[52:55]// 000000004D40: D3E10034 1CD219A4
	s_add_u32 m0, 0x600, s46                                   // 000000004D48: 807C2EFF 00000600
	buffer_load_dword v29, s[4:7], 0 offen lds                 // 000000004D50: E0511000 8001001D
	ds_read_b128 a[104:107], v43 offset:22144                  // 000000004D58: DBFE5680 6800002B
	ds_read_b128 a[108:111], v43 offset:22208                  // 000000004D60: DBFE56C0 6C00002B
	v_mfma_f32_16x16x16_bf16 v[52:55], a[166:167], a[14:15], v[52:55]// 000000004D68: D3E10034 1CD21DA6
	s_add_u32 m0, 0x700, s46                                   // 000000004D70: 807C2EFF 00000700
	buffer_load_dword v30, s[4:7], 0 offen lds                 // 000000004D78: E0511000 8001001E
	v_mfma_f32_16x16x16_bf16 v[56:59], a[160:161], a[16:17], v[56:59]// 000000004D80: D3E10038 1CE221A0
	s_add_u32 m0, 0x800, s46                                   // 000000004D88: 807C2EFF 00000800
	buffer_load_dword v31, s[4:7], 0 offen lds                 // 000000004D90: E0511000 8001001F
	ds_read_b128 a[112:115], v43 offset:22656                  // 000000004D98: DBFE5880 7000002B
	ds_read_b128 a[116:119], v43 offset:22720                  // 000000004DA0: DBFE58C0 7400002B
	v_mfma_f32_16x16x16_bf16 v[56:59], a[162:163], a[18:19], v[56:59]// 000000004DA8: D3E10038 1CE225A2
	s_add_u32 m0, 0x900, s46                                   // 000000004DB0: 807C2EFF 00000900
	buffer_load_dword v32, s[4:7], 0 offen lds                 // 000000004DB8: E0511000 80010020
	v_mfma_f32_16x16x16_bf16 v[56:59], a[164:165], a[20:21], v[56:59]// 000000004DC0: D3E10038 1CE229A4
	s_add_u32 m0, 0xa00, s46                                   // 000000004DC8: 807C2EFF 00000A00
	buffer_load_dword v33, s[4:7], 0 offen lds                 // 000000004DD0: E0511000 80010021
	ds_read_b128 a[120:123], v43 offset:23168                  // 000000004DD8: DBFE5A80 7800002B
	ds_read_b128 a[124:127], v43 offset:23232                  // 000000004DE0: DBFE5AC0 7C00002B
	v_mfma_f32_16x16x16_bf16 v[56:59], a[166:167], a[22:23], v[56:59]// 000000004DE8: D3E10038 1CE22DA6
	s_add_u32 m0, 0xb00, s46                                   // 000000004DF0: 807C2EFF 00000B00
	buffer_load_dword v34, s[4:7], 0 offen lds                 // 000000004DF8: E0511000 80010022
	v_mfma_f32_16x16x16_bf16 v[60:63], a[160:161], a[24:25], v[60:63]// 000000004E00: D3E1003C 1CF231A0
	s_add_u32 m0, 0xc00, s46                                   // 000000004E08: 807C2EFF 00000C00
	buffer_load_dword v35, s[4:7], 0 offen lds                 // 000000004E10: E0511000 80010023
	ds_read_b128 a[128:131], v43 offset:23680                  // 000000004E18: DBFE5C80 8000002B
	ds_read_b128 a[132:135], v43 offset:23744                  // 000000004E20: DBFE5CC0 8400002B
	v_mfma_f32_16x16x16_bf16 v[60:63], a[162:163], a[26:27], v[60:63]// 000000004E28: D3E1003C 1CF235A2
	s_add_u32 m0, 0xd00, s46                                   // 000000004E30: 807C2EFF 00000D00
	buffer_load_dword v36, s[4:7], 0 offen lds                 // 000000004E38: E0511000 80010024
	v_mfma_f32_16x16x16_bf16 v[60:63], a[164:165], a[28:29], v[60:63]// 000000004E40: D3E1003C 1CF239A4
	s_add_u32 m0, 0xe00, s46                                   // 000000004E48: 807C2EFF 00000E00
	buffer_load_dword v37, s[4:7], 0 offen lds                 // 000000004E50: E0511000 80010025
	ds_read_b128 a[136:139], v43 offset:24192                  // 000000004E58: DBFE5E80 8800002B
	ds_read_b128 a[140:143], v43 offset:24256                  // 000000004E60: DBFE5EC0 8C00002B
	v_mfma_f32_16x16x16_bf16 v[60:63], a[166:167], a[30:31], v[60:63]// 000000004E68: D3E1003C 1CF23DA6
	s_add_u32 m0, 0xf00, s46                                   // 000000004E70: 807C2EFF 00000F00
	buffer_load_dword v38, s[4:7], 0 offen lds                 // 000000004E78: E0511000 80010026
	v_mfma_f32_16x16x16_bf16 v[64:67], a[160:161], a[32:33], v[64:67]// 000000004E80: D3E10040 1D0241A0
	s_add_u32 m0, 0x1000, s46                                  // 000000004E88: 807C2EFF 00001000
	buffer_load_dword v39, s[4:7], 0 offen lds                 // 000000004E90: E0511000 80010027
	ds_read_b128 a[144:147], v43 offset:24704                  // 000000004E98: DBFE6080 9000002B
	ds_read_b128 a[148:151], v43 offset:24768                  // 000000004EA0: DBFE60C0 9400002B
	v_mfma_f32_16x16x16_bf16 v[64:67], a[162:163], a[34:35], v[64:67]// 000000004EA8: D3E10040 1D0245A2
	s_add_u32 m0, 0x1100, s46                                  // 000000004EB0: 807C2EFF 00001100
	buffer_load_dword v40, s[4:7], 0 offen lds                 // 000000004EB8: E0511000 80010028
	v_mfma_f32_16x16x16_bf16 v[64:67], a[164:165], a[36:37], v[64:67]// 000000004EC0: D3E10040 1D0249A4
	s_add_u32 m0, 0x1200, s46                                  // 000000004EC8: 807C2EFF 00001200
	buffer_load_dword v41, s[4:7], 0 offen lds                 // 000000004ED0: E0511000 80010029
	ds_read_b128 a[152:155], v43 offset:25216                  // 000000004ED8: DBFE6280 9800002B
	ds_read_b128 a[156:159], v43 offset:25280                  // 000000004EE0: DBFE62C0 9C00002B
	v_mfma_f32_16x16x16_bf16 v[64:67], a[166:167], a[38:39], v[64:67]// 000000004EE8: D3E10040 1D024DA6
	s_add_u32 m0, 0x1300, s46                                  // 000000004EF0: 807C2EFF 00001300
	buffer_load_dword v42, s[4:7], 0 offen lds                 // 000000004EF8: E0511000 8001002A
	v_mfma_f32_16x16x16_bf16 v[68:71], a[160:161], a[40:41], v[68:71]// 000000004F00: D3E10044 1D1251A0
	s_add_u32 s31, 0x100, s33                                  // 000000004F08: 801F21FF 00000100
	s_cmp_lt_u32 s31, s34                                      // 000000004F10: BF0A221F
	s_cselect_b32 s44, s44, 0                                  // 000000004F14: 852C802C
	buffer_load_dwordx4 a[176:179], v44, s[8:11], 0 offen      // 000000004F18: E05C1000 8082B02C
	s_add_u32 s4, s44, s4                                      // 000000004F20: 8004042C
	s_addc_u32 s5, 0, s5                                       // 000000004F24: 82050580
	v_mfma_f32_16x16x16_bf16 v[68:71], a[162:163], a[42:43], v[68:71]// 000000004F28: D3E10044 1D1255A2
	buffer_load_dwordx4 a[180:183], v45, s[8:11], 0 offen      // 000000004F30: E05C1000 8082B42D
	v_mfma_f32_16x16x16_bf16 v[68:71], a[164:165], a[44:45], v[68:71]// 000000004F38: D3E10044 1D1259A4
	s_add_u32 s31, 0xc0, s33                                   // 000000004F40: 801F21FF 000000C0
	s_cmp_lt_u32 s31, s34                                      // 000000004F48: BF0A221F
	s_cselect_b32 s45, s45, 0                                  // 000000004F4C: 852D802D
	s_add_u32 s8, s45, s8                                      // 000000004F50: 8008082D
	s_addc_u32 s9, 0, s9                                       // 000000004F54: 82090980
	v_mfma_f32_16x16x16_bf16 v[68:71], a[166:167], a[46:47], v[68:71]// 000000004F58: D3E10044 1D125DA6
	v_mfma_f32_16x16x16_bf16 v[72:75], a[160:161], a[48:49], v[72:75]// 000000004F60: D3E10048 1D2261A0
	v_mfma_f32_16x16x16_bf16 v[72:75], a[162:163], a[50:51], v[72:75]// 000000004F68: D3E10048 1D2265A2
	v_mfma_f32_16x16x16_bf16 v[72:75], a[164:165], a[52:53], v[72:75]// 000000004F70: D3E10048 1D2269A4
	v_mfma_f32_16x16x16_bf16 v[72:75], a[166:167], a[54:55], v[72:75]// 000000004F78: D3E10048 1D226DA6
	v_mfma_f32_16x16x16_bf16 v[76:79], a[160:161], a[56:57], v[76:79]// 000000004F80: D3E1004C 1D3271A0
	v_mfma_f32_16x16x16_bf16 v[76:79], a[162:163], a[58:59], v[76:79]// 000000004F88: D3E1004C 1D3275A2
	v_mfma_f32_16x16x16_bf16 v[76:79], a[164:165], a[60:61], v[76:79]// 000000004F90: D3E1004C 1D3279A4
	v_mfma_f32_16x16x16_bf16 v[76:79], a[166:167], a[62:63], v[76:79]// 000000004F98: D3E1004C 1D327DA6
	v_mfma_f32_16x16x16_bf16 v[80:83], a[160:161], a[64:65], v[80:83]// 000000004FA0: D3E10050 1D4281A0
	v_mfma_f32_16x16x16_bf16 v[80:83], a[162:163], a[66:67], v[80:83]// 000000004FA8: D3E10050 1D4285A2
	v_mfma_f32_16x16x16_bf16 v[80:83], a[164:165], a[68:69], v[80:83]// 000000004FB0: D3E10050 1D4289A4
	v_mfma_f32_16x16x16_bf16 v[80:83], a[166:167], a[70:71], v[80:83]// 000000004FB8: D3E10050 1D428DA6
	v_mfma_f32_16x16x16_bf16 v[84:87], a[160:161], a[72:73], v[84:87]// 000000004FC0: D3E10054 1D5291A0
	v_mfma_f32_16x16x16_bf16 v[84:87], a[162:163], a[74:75], v[84:87]// 000000004FC8: D3E10054 1D5295A2
	v_mfma_f32_16x16x16_bf16 v[84:87], a[164:165], a[76:77], v[84:87]// 000000004FD0: D3E10054 1D5299A4
	v_mfma_f32_16x16x16_bf16 v[84:87], a[166:167], a[78:79], v[84:87]// 000000004FD8: D3E10054 1D529DA6
	s_addk_i32 s33, 0x40                                       // 000000004FE0: B7210040
	s_cmp_lt_i32 s33, s34                                      // 000000004FE4: BF042221
	s_cbranch_scc0 label_0DC8                                  // 000000004FE8: BF84044D
	s_waitcnt vmcnt(22) lgkmcnt(0)                             // 000000004FEC: BF8C4076
	s_barrier                                                  // 000000004FF0: BF8A0000
	v_mfma_f32_16x16x16_bf16 v[48:51], a[168:169], a[80:81], v[48:51]// 000000004FF4: D3E10030 1CC2A1A8
	s_add_u32 m0, 0, s47                                       // 000000004FFC: 807C2F80
	buffer_load_dword v23, s[4:7], 0 offen lds                 // 000000005000: E0511000 80010017
	ds_read_b128 a[0:3], v43 offset:41216                      // 000000005008: DBFEA100 0000002B
	ds_read_b128 a[4:7], v43 offset:41280                      // 000000005010: DBFEA140 0400002B
	v_mfma_f32_16x16x16_bf16 v[48:51], a[170:171], a[82:83], v[48:51]// 000000005018: D3E10030 1CC2A5AA
	s_add_u32 m0, 0x100, s47                                   // 000000005020: 807C2FFF 00000100
	buffer_load_dword v24, s[4:7], 0 offen lds                 // 000000005028: E0511000 80010018
	v_mfma_f32_16x16x16_bf16 v[48:51], a[172:173], a[84:85], v[48:51]// 000000005030: D3E10030 1CC2A9AC
	s_add_u32 m0, 0x200, s47                                   // 000000005038: 807C2FFF 00000200
	buffer_load_dword v25, s[4:7], 0 offen lds                 // 000000005040: E0511000 80010019
	ds_read_b128 a[8:11], v43 offset:41728                     // 000000005048: DBFEA300 0800002B
	ds_read_b128 a[12:15], v43 offset:41792                    // 000000005050: DBFEA340 0C00002B
	v_mfma_f32_16x16x16_bf16 v[48:51], a[174:175], a[86:87], v[48:51]// 000000005058: D3E10030 1CC2ADAE
	s_add_u32 m0, 0x300, s47                                   // 000000005060: 807C2FFF 00000300
	buffer_load_dword v26, s[4:7], 0 offen lds                 // 000000005068: E0511000 8001001A
	v_mfma_f32_16x16x16_bf16 v[52:55], a[168:169], a[88:89], v[52:55]// 000000005070: D3E10034 1CD2B1A8
	s_add_u32 m0, 0x400, s47                                   // 000000005078: 807C2FFF 00000400
	buffer_load_dword v27, s[4:7], 0 offen lds                 // 000000005080: E0511000 8001001B
	ds_read_b128 a[16:19], v43 offset:42240                    // 000000005088: DBFEA500 1000002B
	ds_read_b128 a[20:23], v43 offset:42304                    // 000000005090: DBFEA540 1400002B
	v_mfma_f32_16x16x16_bf16 v[52:55], a[170:171], a[90:91], v[52:55]// 000000005098: D3E10034 1CD2B5AA
	s_add_u32 m0, 0x500, s47                                   // 0000000050A0: 807C2FFF 00000500
	buffer_load_dword v28, s[4:7], 0 offen lds                 // 0000000050A8: E0511000 8001001C
	v_mfma_f32_16x16x16_bf16 v[52:55], a[172:173], a[92:93], v[52:55]// 0000000050B0: D3E10034 1CD2B9AC
	s_add_u32 m0, 0x600, s47                                   // 0000000050B8: 807C2FFF 00000600
	buffer_load_dword v29, s[4:7], 0 offen lds                 // 0000000050C0: E0511000 8001001D
	ds_read_b128 a[24:27], v43 offset:42752                    // 0000000050C8: DBFEA700 1800002B
	ds_read_b128 a[28:31], v43 offset:42816                    // 0000000050D0: DBFEA740 1C00002B
	v_mfma_f32_16x16x16_bf16 v[52:55], a[174:175], a[94:95], v[52:55]// 0000000050D8: D3E10034 1CD2BDAE
	s_add_u32 m0, 0x700, s47                                   // 0000000050E0: 807C2FFF 00000700
	buffer_load_dword v30, s[4:7], 0 offen lds                 // 0000000050E8: E0511000 8001001E
	v_mfma_f32_16x16x16_bf16 v[56:59], a[168:169], a[96:97], v[56:59]// 0000000050F0: D3E10038 1CE2C1A8
	s_add_u32 m0, 0x800, s47                                   // 0000000050F8: 807C2FFF 00000800
	buffer_load_dword v31, s[4:7], 0 offen lds                 // 000000005100: E0511000 8001001F
	ds_read_b128 a[32:35], v43 offset:43264                    // 000000005108: DBFEA900 2000002B
	ds_read_b128 a[36:39], v43 offset:43328                    // 000000005110: DBFEA940 2400002B
	v_mfma_f32_16x16x16_bf16 v[56:59], a[170:171], a[98:99], v[56:59]// 000000005118: D3E10038 1CE2C5AA
	s_add_u32 m0, 0x900, s47                                   // 000000005120: 807C2FFF 00000900
	buffer_load_dword v32, s[4:7], 0 offen lds                 // 000000005128: E0511000 80010020
	v_mfma_f32_16x16x16_bf16 v[56:59], a[172:173], a[100:101], v[56:59]// 000000005130: D3E10038 1CE2C9AC
	s_add_u32 m0, 0xa00, s47                                   // 000000005138: 807C2FFF 00000A00
	buffer_load_dword v33, s[4:7], 0 offen lds                 // 000000005140: E0511000 80010021
	ds_read_b128 a[40:43], v43 offset:43776                    // 000000005148: DBFEAB00 2800002B
	ds_read_b128 a[44:47], v43 offset:43840                    // 000000005150: DBFEAB40 2C00002B
	v_mfma_f32_16x16x16_bf16 v[56:59], a[174:175], a[102:103], v[56:59]// 000000005158: D3E10038 1CE2CDAE
	s_add_u32 m0, 0xb00, s47                                   // 000000005160: 807C2FFF 00000B00
	buffer_load_dword v34, s[4:7], 0 offen lds                 // 000000005168: E0511000 80010022
	v_mfma_f32_16x16x16_bf16 v[60:63], a[168:169], a[104:105], v[60:63]// 000000005170: D3E1003C 1CF2D1A8
	s_add_u32 m0, 0xc00, s47                                   // 000000005178: 807C2FFF 00000C00
	buffer_load_dword v35, s[4:7], 0 offen lds                 // 000000005180: E0511000 80010023
	ds_read_b128 a[48:51], v43 offset:44288                    // 000000005188: DBFEAD00 3000002B
	ds_read_b128 a[52:55], v43 offset:44352                    // 000000005190: DBFEAD40 3400002B
	v_mfma_f32_16x16x16_bf16 v[60:63], a[170:171], a[106:107], v[60:63]// 000000005198: D3E1003C 1CF2D5AA
	s_add_u32 m0, 0xd00, s47                                   // 0000000051A0: 807C2FFF 00000D00
	buffer_load_dword v36, s[4:7], 0 offen lds                 // 0000000051A8: E0511000 80010024
	v_mfma_f32_16x16x16_bf16 v[60:63], a[172:173], a[108:109], v[60:63]// 0000000051B0: D3E1003C 1CF2D9AC
	s_add_u32 m0, 0xe00, s47                                   // 0000000051B8: 807C2FFF 00000E00
	buffer_load_dword v37, s[4:7], 0 offen lds                 // 0000000051C0: E0511000 80010025
	ds_read_b128 a[56:59], v43 offset:44800                    // 0000000051C8: DBFEAF00 3800002B
	ds_read_b128 a[60:63], v43 offset:44864                    // 0000000051D0: DBFEAF40 3C00002B
	v_mfma_f32_16x16x16_bf16 v[60:63], a[174:175], a[110:111], v[60:63]// 0000000051D8: D3E1003C 1CF2DDAE
	s_add_u32 m0, 0xf00, s47                                   // 0000000051E0: 807C2FFF 00000F00
	buffer_load_dword v38, s[4:7], 0 offen lds                 // 0000000051E8: E0511000 80010026
	v_mfma_f32_16x16x16_bf16 v[64:67], a[168:169], a[112:113], v[64:67]// 0000000051F0: D3E10040 1D02E1A8
	s_add_u32 m0, 0x1000, s47                                  // 0000000051F8: 807C2FFF 00001000
	buffer_load_dword v39, s[4:7], 0 offen lds                 // 000000005200: E0511000 80010027
	ds_read_b128 a[64:67], v43 offset:45312                    // 000000005208: DBFEB100 4000002B
	ds_read_b128 a[68:71], v43 offset:45376                    // 000000005210: DBFEB140 4400002B
	v_mfma_f32_16x16x16_bf16 v[64:67], a[170:171], a[114:115], v[64:67]// 000000005218: D3E10040 1D02E5AA
	s_add_u32 m0, 0x1100, s47                                  // 000000005220: 807C2FFF 00001100
	buffer_load_dword v40, s[4:7], 0 offen lds                 // 000000005228: E0511000 80010028
	v_mfma_f32_16x16x16_bf16 v[64:67], a[172:173], a[116:117], v[64:67]// 000000005230: D3E10040 1D02E9AC
	s_add_u32 m0, 0x1200, s47                                  // 000000005238: 807C2FFF 00001200
	buffer_load_dword v41, s[4:7], 0 offen lds                 // 000000005240: E0511000 80010029
	ds_read_b128 a[72:75], v43 offset:45824                    // 000000005248: DBFEB300 4800002B
	ds_read_b128 a[76:79], v43 offset:45888                    // 000000005250: DBFEB340 4C00002B
	v_mfma_f32_16x16x16_bf16 v[64:67], a[174:175], a[118:119], v[64:67]// 000000005258: D3E10040 1D02EDAE
	s_add_u32 m0, 0x1300, s47                                  // 000000005260: 807C2FFF 00001300
	buffer_load_dword v42, s[4:7], 0 offen lds                 // 000000005268: E0511000 8001002A
	v_mfma_f32_16x16x16_bf16 v[68:71], a[168:169], a[120:121], v[68:71]// 000000005270: D3E10044 1D12F1A8
	s_add_u32 s31, 0x100, s33                                  // 000000005278: 801F21FF 00000100
	s_cmp_lt_u32 s31, s34                                      // 000000005280: BF0A221F
	s_cselect_b32 s44, s44, 0                                  // 000000005284: 852C802C
	buffer_load_dwordx4 a[160:163], v44, s[8:11], 0 offen      // 000000005288: E05C1000 8082A02C
	s_add_u32 s4, s44, s4                                      // 000000005290: 8004042C
	s_addc_u32 s5, 0, s5                                       // 000000005294: 82050580
	v_mfma_f32_16x16x16_bf16 v[68:71], a[170:171], a[122:123], v[68:71]// 000000005298: D3E10044 1D12F5AA
	buffer_load_dwordx4 a[164:167], v45, s[8:11], 0 offen      // 0000000052A0: E05C1000 8082A42D
	v_mfma_f32_16x16x16_bf16 v[68:71], a[172:173], a[124:125], v[68:71]// 0000000052A8: D3E10044 1D12F9AC
	s_add_u32 s31, 0xc0, s33                                   // 0000000052B0: 801F21FF 000000C0
	s_cmp_lt_u32 s31, s34                                      // 0000000052B8: BF0A221F
	s_cselect_b32 s45, s45, 0                                  // 0000000052BC: 852D802D
	s_add_u32 s8, s45, s8                                      // 0000000052C0: 8008082D
	s_addc_u32 s9, 0, s9                                       // 0000000052C4: 82090980
	v_mfma_f32_16x16x16_bf16 v[68:71], a[174:175], a[126:127], v[68:71]// 0000000052C8: D3E10044 1D12FDAE
	v_mfma_f32_16x16x16_bf16 v[72:75], a[168:169], a[128:129], v[72:75]// 0000000052D0: D3E10048 1D2301A8
	v_mfma_f32_16x16x16_bf16 v[72:75], a[170:171], a[130:131], v[72:75]// 0000000052D8: D3E10048 1D2305AA
	v_mfma_f32_16x16x16_bf16 v[72:75], a[172:173], a[132:133], v[72:75]// 0000000052E0: D3E10048 1D2309AC
	v_mfma_f32_16x16x16_bf16 v[72:75], a[174:175], a[134:135], v[72:75]// 0000000052E8: D3E10048 1D230DAE
	v_mfma_f32_16x16x16_bf16 v[76:79], a[168:169], a[136:137], v[76:79]// 0000000052F0: D3E1004C 1D3311A8
	v_mfma_f32_16x16x16_bf16 v[76:79], a[170:171], a[138:139], v[76:79]// 0000000052F8: D3E1004C 1D3315AA
	v_mfma_f32_16x16x16_bf16 v[76:79], a[172:173], a[140:141], v[76:79]// 000000005300: D3E1004C 1D3319AC
	v_mfma_f32_16x16x16_bf16 v[76:79], a[174:175], a[142:143], v[76:79]// 000000005308: D3E1004C 1D331DAE
	v_mfma_f32_16x16x16_bf16 v[80:83], a[168:169], a[144:145], v[80:83]// 000000005310: D3E10050 1D4321A8
	v_mfma_f32_16x16x16_bf16 v[80:83], a[170:171], a[146:147], v[80:83]// 000000005318: D3E10050 1D4325AA
	v_mfma_f32_16x16x16_bf16 v[80:83], a[172:173], a[148:149], v[80:83]// 000000005320: D3E10050 1D4329AC
	v_mfma_f32_16x16x16_bf16 v[80:83], a[174:175], a[150:151], v[80:83]// 000000005328: D3E10050 1D432DAE
	v_mfma_f32_16x16x16_bf16 v[84:87], a[168:169], a[152:153], v[84:87]// 000000005330: D3E10054 1D5331A8
	v_mfma_f32_16x16x16_bf16 v[84:87], a[170:171], a[154:155], v[84:87]// 000000005338: D3E10054 1D5335AA
	v_mfma_f32_16x16x16_bf16 v[84:87], a[172:173], a[156:157], v[84:87]// 000000005340: D3E10054 1D5339AC
	v_mfma_f32_16x16x16_bf16 v[84:87], a[174:175], a[158:159], v[84:87]// 000000005348: D3E10054 1D533DAE
	s_addk_i32 s33, 0x40                                       // 000000005350: B7210040
	s_cmp_lt_i32 s33, s34                                      // 000000005354: BF042221
	s_cbranch_scc0 label_0DC8                                  // 000000005358: BF840371
	s_waitcnt vmcnt(22) lgkmcnt(0)                             // 00000000535C: BF8C4076
	s_barrier                                                  // 000000005360: BF8A0000
	v_mfma_f32_16x16x16_bf16 v[48:51], a[176:177], a[0:1], v[48:51]// 000000005364: D3E10030 1CC201B0
	s_add_u32 m0, 0, s48                                       // 00000000536C: 807C3080
	buffer_load_dword v23, s[4:7], 0 offen lds                 // 000000005370: E0511000 80010017
	ds_read_b128 a[80:83], v43                                 // 000000005378: DBFE0000 5000002B
	ds_read_b128 a[84:87], v43 offset:64                       // 000000005380: DBFE0040 5400002B
	v_mfma_f32_16x16x16_bf16 v[48:51], a[178:179], a[2:3], v[48:51]// 000000005388: D3E10030 1CC205B2
	s_add_u32 m0, 0x100, s48                                   // 000000005390: 807C30FF 00000100
	buffer_load_dword v24, s[4:7], 0 offen lds                 // 000000005398: E0511000 80010018
	v_mfma_f32_16x16x16_bf16 v[48:51], a[180:181], a[4:5], v[48:51]// 0000000053A0: D3E10030 1CC209B4
	s_add_u32 m0, 0x200, s48                                   // 0000000053A8: 807C30FF 00000200
	buffer_load_dword v25, s[4:7], 0 offen lds                 // 0000000053B0: E0511000 80010019
	ds_read_b128 a[88:91], v43 offset:512                      // 0000000053B8: DBFE0200 5800002B
	ds_read_b128 a[92:95], v43 offset:576                      // 0000000053C0: DBFE0240 5C00002B
	v_mfma_f32_16x16x16_bf16 v[48:51], a[182:183], a[6:7], v[48:51]// 0000000053C8: D3E10030 1CC20DB6
	s_add_u32 m0, 0x300, s48                                   // 0000000053D0: 807C30FF 00000300
	buffer_load_dword v26, s[4:7], 0 offen lds                 // 0000000053D8: E0511000 8001001A
	v_mfma_f32_16x16x16_bf16 v[52:55], a[176:177], a[8:9], v[52:55]// 0000000053E0: D3E10034 1CD211B0
	s_add_u32 m0, 0x400, s48                                   // 0000000053E8: 807C30FF 00000400
	buffer_load_dword v27, s[4:7], 0 offen lds                 // 0000000053F0: E0511000 8001001B
	ds_read_b128 a[96:99], v43 offset:1024                     // 0000000053F8: DBFE0400 6000002B
	ds_read_b128 a[100:103], v43 offset:1088                   // 000000005400: DBFE0440 6400002B
	v_mfma_f32_16x16x16_bf16 v[52:55], a[178:179], a[10:11], v[52:55]// 000000005408: D3E10034 1CD215B2
	s_add_u32 m0, 0x500, s48                                   // 000000005410: 807C30FF 00000500
	buffer_load_dword v28, s[4:7], 0 offen lds                 // 000000005418: E0511000 8001001C
	v_mfma_f32_16x16x16_bf16 v[52:55], a[180:181], a[12:13], v[52:55]// 000000005420: D3E10034 1CD219B4
	s_add_u32 m0, 0x600, s48                                   // 000000005428: 807C30FF 00000600
	buffer_load_dword v29, s[4:7], 0 offen lds                 // 000000005430: E0511000 8001001D
	ds_read_b128 a[104:107], v43 offset:1536                   // 000000005438: DBFE0600 6800002B
	ds_read_b128 a[108:111], v43 offset:1600                   // 000000005440: DBFE0640 6C00002B
	v_mfma_f32_16x16x16_bf16 v[52:55], a[182:183], a[14:15], v[52:55]// 000000005448: D3E10034 1CD21DB6
	s_add_u32 m0, 0x700, s48                                   // 000000005450: 807C30FF 00000700
	buffer_load_dword v30, s[4:7], 0 offen lds                 // 000000005458: E0511000 8001001E
	v_mfma_f32_16x16x16_bf16 v[56:59], a[176:177], a[16:17], v[56:59]// 000000005460: D3E10038 1CE221B0
	s_add_u32 m0, 0x800, s48                                   // 000000005468: 807C30FF 00000800
	buffer_load_dword v31, s[4:7], 0 offen lds                 // 000000005470: E0511000 8001001F
	ds_read_b128 a[112:115], v43 offset:2048                   // 000000005478: DBFE0800 7000002B
	ds_read_b128 a[116:119], v43 offset:2112                   // 000000005480: DBFE0840 7400002B
	v_mfma_f32_16x16x16_bf16 v[56:59], a[178:179], a[18:19], v[56:59]// 000000005488: D3E10038 1CE225B2
	s_add_u32 m0, 0x900, s48                                   // 000000005490: 807C30FF 00000900
	buffer_load_dword v32, s[4:7], 0 offen lds                 // 000000005498: E0511000 80010020
	v_mfma_f32_16x16x16_bf16 v[56:59], a[180:181], a[20:21], v[56:59]// 0000000054A0: D3E10038 1CE229B4
	s_add_u32 m0, 0xa00, s48                                   // 0000000054A8: 807C30FF 00000A00
	buffer_load_dword v33, s[4:7], 0 offen lds                 // 0000000054B0: E0511000 80010021
	ds_read_b128 a[120:123], v43 offset:2560                   // 0000000054B8: DBFE0A00 7800002B
	ds_read_b128 a[124:127], v43 offset:2624                   // 0000000054C0: DBFE0A40 7C00002B
	v_mfma_f32_16x16x16_bf16 v[56:59], a[182:183], a[22:23], v[56:59]// 0000000054C8: D3E10038 1CE22DB6
	s_add_u32 m0, 0xb00, s48                                   // 0000000054D0: 807C30FF 00000B00
	buffer_load_dword v34, s[4:7], 0 offen lds                 // 0000000054D8: E0511000 80010022
	v_mfma_f32_16x16x16_bf16 v[60:63], a[176:177], a[24:25], v[60:63]// 0000000054E0: D3E1003C 1CF231B0
	s_add_u32 m0, 0xc00, s48                                   // 0000000054E8: 807C30FF 00000C00
	buffer_load_dword v35, s[4:7], 0 offen lds                 // 0000000054F0: E0511000 80010023
	ds_read_b128 a[128:131], v43 offset:3072                   // 0000000054F8: DBFE0C00 8000002B
	ds_read_b128 a[132:135], v43 offset:3136                   // 000000005500: DBFE0C40 8400002B
	v_mfma_f32_16x16x16_bf16 v[60:63], a[178:179], a[26:27], v[60:63]// 000000005508: D3E1003C 1CF235B2
	s_add_u32 m0, 0xd00, s48                                   // 000000005510: 807C30FF 00000D00
	buffer_load_dword v36, s[4:7], 0 offen lds                 // 000000005518: E0511000 80010024
	v_mfma_f32_16x16x16_bf16 v[60:63], a[180:181], a[28:29], v[60:63]// 000000005520: D3E1003C 1CF239B4
	s_add_u32 m0, 0xe00, s48                                   // 000000005528: 807C30FF 00000E00
	buffer_load_dword v37, s[4:7], 0 offen lds                 // 000000005530: E0511000 80010025
	ds_read_b128 a[136:139], v43 offset:3584                   // 000000005538: DBFE0E00 8800002B
	ds_read_b128 a[140:143], v43 offset:3648                   // 000000005540: DBFE0E40 8C00002B
	v_mfma_f32_16x16x16_bf16 v[60:63], a[182:183], a[30:31], v[60:63]// 000000005548: D3E1003C 1CF23DB6
	s_add_u32 m0, 0xf00, s48                                   // 000000005550: 807C30FF 00000F00
	buffer_load_dword v38, s[4:7], 0 offen lds                 // 000000005558: E0511000 80010026
	v_mfma_f32_16x16x16_bf16 v[64:67], a[176:177], a[32:33], v[64:67]// 000000005560: D3E10040 1D0241B0
	s_add_u32 m0, 0x1000, s48                                  // 000000005568: 807C30FF 00001000
	buffer_load_dword v39, s[4:7], 0 offen lds                 // 000000005570: E0511000 80010027
	ds_read_b128 a[144:147], v43 offset:4096                   // 000000005578: DBFE1000 9000002B
	ds_read_b128 a[148:151], v43 offset:4160                   // 000000005580: DBFE1040 9400002B
	v_mfma_f32_16x16x16_bf16 v[64:67], a[178:179], a[34:35], v[64:67]// 000000005588: D3E10040 1D0245B2
	s_add_u32 m0, 0x1100, s48                                  // 000000005590: 807C30FF 00001100
	buffer_load_dword v40, s[4:7], 0 offen lds                 // 000000005598: E0511000 80010028
	v_mfma_f32_16x16x16_bf16 v[64:67], a[180:181], a[36:37], v[64:67]// 0000000055A0: D3E10040 1D0249B4
	s_add_u32 m0, 0x1200, s48                                  // 0000000055A8: 807C30FF 00001200
	buffer_load_dword v41, s[4:7], 0 offen lds                 // 0000000055B0: E0511000 80010029
	ds_read_b128 a[152:155], v43 offset:4608                   // 0000000055B8: DBFE1200 9800002B
	ds_read_b128 a[156:159], v43 offset:4672                   // 0000000055C0: DBFE1240 9C00002B
	v_mfma_f32_16x16x16_bf16 v[64:67], a[182:183], a[38:39], v[64:67]// 0000000055C8: D3E10040 1D024DB6
	s_add_u32 m0, 0x1300, s48                                  // 0000000055D0: 807C30FF 00001300
	buffer_load_dword v42, s[4:7], 0 offen lds                 // 0000000055D8: E0511000 8001002A
	v_mfma_f32_16x16x16_bf16 v[68:71], a[176:177], a[40:41], v[68:71]// 0000000055E0: D3E10044 1D1251B0
	s_add_u32 s31, 0x100, s33                                  // 0000000055E8: 801F21FF 00000100
	s_cmp_lt_u32 s31, s34                                      // 0000000055F0: BF0A221F
	s_cselect_b32 s44, s44, 0                                  // 0000000055F4: 852C802C
	buffer_load_dwordx4 a[168:171], v44, s[8:11], 0 offen      // 0000000055F8: E05C1000 8082A82C
	s_add_u32 s4, s44, s4                                      // 000000005600: 8004042C
	s_addc_u32 s5, 0, s5                                       // 000000005604: 82050580
	v_mfma_f32_16x16x16_bf16 v[68:71], a[178:179], a[42:43], v[68:71]// 000000005608: D3E10044 1D1255B2
	buffer_load_dwordx4 a[172:175], v45, s[8:11], 0 offen      // 000000005610: E05C1000 8082AC2D
	v_mfma_f32_16x16x16_bf16 v[68:71], a[180:181], a[44:45], v[68:71]// 000000005618: D3E10044 1D1259B4
	s_add_u32 s31, 0xc0, s33                                   // 000000005620: 801F21FF 000000C0
	s_cmp_lt_u32 s31, s34                                      // 000000005628: BF0A221F
	s_cselect_b32 s45, s45, 0                                  // 00000000562C: 852D802D
	s_add_u32 s8, s45, s8                                      // 000000005630: 8008082D
	s_addc_u32 s9, 0, s9                                       // 000000005634: 82090980
	v_mfma_f32_16x16x16_bf16 v[68:71], a[182:183], a[46:47], v[68:71]// 000000005638: D3E10044 1D125DB6
	v_mfma_f32_16x16x16_bf16 v[72:75], a[176:177], a[48:49], v[72:75]// 000000005640: D3E10048 1D2261B0
	v_mfma_f32_16x16x16_bf16 v[72:75], a[178:179], a[50:51], v[72:75]// 000000005648: D3E10048 1D2265B2
	v_mfma_f32_16x16x16_bf16 v[72:75], a[180:181], a[52:53], v[72:75]// 000000005650: D3E10048 1D2269B4
	v_mfma_f32_16x16x16_bf16 v[72:75], a[182:183], a[54:55], v[72:75]// 000000005658: D3E10048 1D226DB6
	v_mfma_f32_16x16x16_bf16 v[76:79], a[176:177], a[56:57], v[76:79]// 000000005660: D3E1004C 1D3271B0
	v_mfma_f32_16x16x16_bf16 v[76:79], a[178:179], a[58:59], v[76:79]// 000000005668: D3E1004C 1D3275B2
	v_mfma_f32_16x16x16_bf16 v[76:79], a[180:181], a[60:61], v[76:79]// 000000005670: D3E1004C 1D3279B4
	v_mfma_f32_16x16x16_bf16 v[76:79], a[182:183], a[62:63], v[76:79]// 000000005678: D3E1004C 1D327DB6
	v_mfma_f32_16x16x16_bf16 v[80:83], a[176:177], a[64:65], v[80:83]// 000000005680: D3E10050 1D4281B0
	v_mfma_f32_16x16x16_bf16 v[80:83], a[178:179], a[66:67], v[80:83]// 000000005688: D3E10050 1D4285B2
	v_mfma_f32_16x16x16_bf16 v[80:83], a[180:181], a[68:69], v[80:83]// 000000005690: D3E10050 1D4289B4
	v_mfma_f32_16x16x16_bf16 v[80:83], a[182:183], a[70:71], v[80:83]// 000000005698: D3E10050 1D428DB6
	v_mfma_f32_16x16x16_bf16 v[84:87], a[176:177], a[72:73], v[84:87]// 0000000056A0: D3E10054 1D5291B0
	v_mfma_f32_16x16x16_bf16 v[84:87], a[178:179], a[74:75], v[84:87]// 0000000056A8: D3E10054 1D5295B2
	v_mfma_f32_16x16x16_bf16 v[84:87], a[180:181], a[76:77], v[84:87]// 0000000056B0: D3E10054 1D5299B4
	v_mfma_f32_16x16x16_bf16 v[84:87], a[182:183], a[78:79], v[84:87]// 0000000056B8: D3E10054 1D529DB6
	s_addk_i32 s33, 0x40                                       // 0000000056C0: B7210040
	s_cmp_lt_i32 s33, s34                                      // 0000000056C4: BF042221
	s_cbranch_scc0 label_0DC8                                  // 0000000056C8: BF840295
	s_waitcnt vmcnt(22) lgkmcnt(0)                             // 0000000056CC: BF8C4076
	s_barrier                                                  // 0000000056D0: BF8A0000
	v_mfma_f32_16x16x16_bf16 v[48:51], a[160:161], a[80:81], v[48:51]// 0000000056D4: D3E10030 1CC2A1A0
	s_add_u32 m0, 0, s46                                       // 0000000056DC: 807C2E80
	buffer_load_dword v23, s[4:7], 0 offen lds                 // 0000000056E0: E0511000 80010017
	ds_read_b128 a[0:3], v43 offset:20608                      // 0000000056E8: DBFE5080 0000002B
	ds_read_b128 a[4:7], v43 offset:20672                      // 0000000056F0: DBFE50C0 0400002B
	v_mfma_f32_16x16x16_bf16 v[48:51], a[162:163], a[82:83], v[48:51]// 0000000056F8: D3E10030 1CC2A5A2
	s_add_u32 m0, 0x100, s46                                   // 000000005700: 807C2EFF 00000100
	buffer_load_dword v24, s[4:7], 0 offen lds                 // 000000005708: E0511000 80010018
	v_mfma_f32_16x16x16_bf16 v[48:51], a[164:165], a[84:85], v[48:51]// 000000005710: D3E10030 1CC2A9A4
	s_add_u32 m0, 0x200, s46                                   // 000000005718: 807C2EFF 00000200
	buffer_load_dword v25, s[4:7], 0 offen lds                 // 000000005720: E0511000 80010019
	ds_read_b128 a[8:11], v43 offset:21120                     // 000000005728: DBFE5280 0800002B
	ds_read_b128 a[12:15], v43 offset:21184                    // 000000005730: DBFE52C0 0C00002B
	v_mfma_f32_16x16x16_bf16 v[48:51], a[166:167], a[86:87], v[48:51]// 000000005738: D3E10030 1CC2ADA6
	s_add_u32 m0, 0x300, s46                                   // 000000005740: 807C2EFF 00000300
	buffer_load_dword v26, s[4:7], 0 offen lds                 // 000000005748: E0511000 8001001A
	v_mfma_f32_16x16x16_bf16 v[52:55], a[160:161], a[88:89], v[52:55]// 000000005750: D3E10034 1CD2B1A0
	s_add_u32 m0, 0x400, s46                                   // 000000005758: 807C2EFF 00000400
	buffer_load_dword v27, s[4:7], 0 offen lds                 // 000000005760: E0511000 8001001B
	ds_read_b128 a[16:19], v43 offset:21632                    // 000000005768: DBFE5480 1000002B
	ds_read_b128 a[20:23], v43 offset:21696                    // 000000005770: DBFE54C0 1400002B
	v_mfma_f32_16x16x16_bf16 v[52:55], a[162:163], a[90:91], v[52:55]// 000000005778: D3E10034 1CD2B5A2
	s_add_u32 m0, 0x500, s46                                   // 000000005780: 807C2EFF 00000500
	buffer_load_dword v28, s[4:7], 0 offen lds                 // 000000005788: E0511000 8001001C
	v_mfma_f32_16x16x16_bf16 v[52:55], a[164:165], a[92:93], v[52:55]// 000000005790: D3E10034 1CD2B9A4
	s_add_u32 m0, 0x600, s46                                   // 000000005798: 807C2EFF 00000600
	buffer_load_dword v29, s[4:7], 0 offen lds                 // 0000000057A0: E0511000 8001001D
	ds_read_b128 a[24:27], v43 offset:22144                    // 0000000057A8: DBFE5680 1800002B
	ds_read_b128 a[28:31], v43 offset:22208                    // 0000000057B0: DBFE56C0 1C00002B
	v_mfma_f32_16x16x16_bf16 v[52:55], a[166:167], a[94:95], v[52:55]// 0000000057B8: D3E10034 1CD2BDA6
	s_add_u32 m0, 0x700, s46                                   // 0000000057C0: 807C2EFF 00000700
	buffer_load_dword v30, s[4:7], 0 offen lds                 // 0000000057C8: E0511000 8001001E
	v_mfma_f32_16x16x16_bf16 v[56:59], a[160:161], a[96:97], v[56:59]// 0000000057D0: D3E10038 1CE2C1A0
	s_add_u32 m0, 0x800, s46                                   // 0000000057D8: 807C2EFF 00000800
	buffer_load_dword v31, s[4:7], 0 offen lds                 // 0000000057E0: E0511000 8001001F
	ds_read_b128 a[32:35], v43 offset:22656                    // 0000000057E8: DBFE5880 2000002B
	ds_read_b128 a[36:39], v43 offset:22720                    // 0000000057F0: DBFE58C0 2400002B
	v_mfma_f32_16x16x16_bf16 v[56:59], a[162:163], a[98:99], v[56:59]// 0000000057F8: D3E10038 1CE2C5A2
	s_add_u32 m0, 0x900, s46                                   // 000000005800: 807C2EFF 00000900
	buffer_load_dword v32, s[4:7], 0 offen lds                 // 000000005808: E0511000 80010020
	v_mfma_f32_16x16x16_bf16 v[56:59], a[164:165], a[100:101], v[56:59]// 000000005810: D3E10038 1CE2C9A4
	s_add_u32 m0, 0xa00, s46                                   // 000000005818: 807C2EFF 00000A00
	buffer_load_dword v33, s[4:7], 0 offen lds                 // 000000005820: E0511000 80010021
	ds_read_b128 a[40:43], v43 offset:23168                    // 000000005828: DBFE5A80 2800002B
	ds_read_b128 a[44:47], v43 offset:23232                    // 000000005830: DBFE5AC0 2C00002B
	v_mfma_f32_16x16x16_bf16 v[56:59], a[166:167], a[102:103], v[56:59]// 000000005838: D3E10038 1CE2CDA6
	s_add_u32 m0, 0xb00, s46                                   // 000000005840: 807C2EFF 00000B00
	buffer_load_dword v34, s[4:7], 0 offen lds                 // 000000005848: E0511000 80010022
	v_mfma_f32_16x16x16_bf16 v[60:63], a[160:161], a[104:105], v[60:63]// 000000005850: D3E1003C 1CF2D1A0
	s_add_u32 m0, 0xc00, s46                                   // 000000005858: 807C2EFF 00000C00
	buffer_load_dword v35, s[4:7], 0 offen lds                 // 000000005860: E0511000 80010023
	ds_read_b128 a[48:51], v43 offset:23680                    // 000000005868: DBFE5C80 3000002B
	ds_read_b128 a[52:55], v43 offset:23744                    // 000000005870: DBFE5CC0 3400002B
	v_mfma_f32_16x16x16_bf16 v[60:63], a[162:163], a[106:107], v[60:63]// 000000005878: D3E1003C 1CF2D5A2
	s_add_u32 m0, 0xd00, s46                                   // 000000005880: 807C2EFF 00000D00
	buffer_load_dword v36, s[4:7], 0 offen lds                 // 000000005888: E0511000 80010024
	v_mfma_f32_16x16x16_bf16 v[60:63], a[164:165], a[108:109], v[60:63]// 000000005890: D3E1003C 1CF2D9A4
	s_add_u32 m0, 0xe00, s46                                   // 000000005898: 807C2EFF 00000E00
	buffer_load_dword v37, s[4:7], 0 offen lds                 // 0000000058A0: E0511000 80010025
	ds_read_b128 a[56:59], v43 offset:24192                    // 0000000058A8: DBFE5E80 3800002B
	ds_read_b128 a[60:63], v43 offset:24256                    // 0000000058B0: DBFE5EC0 3C00002B
	v_mfma_f32_16x16x16_bf16 v[60:63], a[166:167], a[110:111], v[60:63]// 0000000058B8: D3E1003C 1CF2DDA6
	s_add_u32 m0, 0xf00, s46                                   // 0000000058C0: 807C2EFF 00000F00
	buffer_load_dword v38, s[4:7], 0 offen lds                 // 0000000058C8: E0511000 80010026
	v_mfma_f32_16x16x16_bf16 v[64:67], a[160:161], a[112:113], v[64:67]// 0000000058D0: D3E10040 1D02E1A0
	s_add_u32 m0, 0x1000, s46                                  // 0000000058D8: 807C2EFF 00001000
	buffer_load_dword v39, s[4:7], 0 offen lds                 // 0000000058E0: E0511000 80010027
	ds_read_b128 a[64:67], v43 offset:24704                    // 0000000058E8: DBFE6080 4000002B
	ds_read_b128 a[68:71], v43 offset:24768                    // 0000000058F0: DBFE60C0 4400002B
	v_mfma_f32_16x16x16_bf16 v[64:67], a[162:163], a[114:115], v[64:67]// 0000000058F8: D3E10040 1D02E5A2
	s_add_u32 m0, 0x1100, s46                                  // 000000005900: 807C2EFF 00001100
	buffer_load_dword v40, s[4:7], 0 offen lds                 // 000000005908: E0511000 80010028
	v_mfma_f32_16x16x16_bf16 v[64:67], a[164:165], a[116:117], v[64:67]// 000000005910: D3E10040 1D02E9A4
	s_add_u32 m0, 0x1200, s46                                  // 000000005918: 807C2EFF 00001200
	buffer_load_dword v41, s[4:7], 0 offen lds                 // 000000005920: E0511000 80010029
	ds_read_b128 a[72:75], v43 offset:25216                    // 000000005928: DBFE6280 4800002B
	ds_read_b128 a[76:79], v43 offset:25280                    // 000000005930: DBFE62C0 4C00002B
	v_mfma_f32_16x16x16_bf16 v[64:67], a[166:167], a[118:119], v[64:67]// 000000005938: D3E10040 1D02EDA6
	s_add_u32 m0, 0x1300, s46                                  // 000000005940: 807C2EFF 00001300
	buffer_load_dword v42, s[4:7], 0 offen lds                 // 000000005948: E0511000 8001002A
	v_mfma_f32_16x16x16_bf16 v[68:71], a[160:161], a[120:121], v[68:71]// 000000005950: D3E10044 1D12F1A0
	s_add_u32 s31, 0x100, s33                                  // 000000005958: 801F21FF 00000100
	s_cmp_lt_u32 s31, s34                                      // 000000005960: BF0A221F
	s_cselect_b32 s44, s44, 0                                  // 000000005964: 852C802C
	buffer_load_dwordx4 a[176:179], v44, s[8:11], 0 offen      // 000000005968: E05C1000 8082B02C
	s_add_u32 s4, s44, s4                                      // 000000005970: 8004042C
	s_addc_u32 s5, 0, s5                                       // 000000005974: 82050580
	v_mfma_f32_16x16x16_bf16 v[68:71], a[162:163], a[122:123], v[68:71]// 000000005978: D3E10044 1D12F5A2
	buffer_load_dwordx4 a[180:183], v45, s[8:11], 0 offen      // 000000005980: E05C1000 8082B42D
	v_mfma_f32_16x16x16_bf16 v[68:71], a[164:165], a[124:125], v[68:71]// 000000005988: D3E10044 1D12F9A4
	s_add_u32 s31, 0xc0, s33                                   // 000000005990: 801F21FF 000000C0
	s_cmp_lt_u32 s31, s34                                      // 000000005998: BF0A221F
	s_cselect_b32 s45, s45, 0                                  // 00000000599C: 852D802D
	s_add_u32 s8, s45, s8                                      // 0000000059A0: 8008082D
	s_addc_u32 s9, 0, s9                                       // 0000000059A4: 82090980
	v_mfma_f32_16x16x16_bf16 v[68:71], a[166:167], a[126:127], v[68:71]// 0000000059A8: D3E10044 1D12FDA6
	v_mfma_f32_16x16x16_bf16 v[72:75], a[160:161], a[128:129], v[72:75]// 0000000059B0: D3E10048 1D2301A0
	v_mfma_f32_16x16x16_bf16 v[72:75], a[162:163], a[130:131], v[72:75]// 0000000059B8: D3E10048 1D2305A2
	v_mfma_f32_16x16x16_bf16 v[72:75], a[164:165], a[132:133], v[72:75]// 0000000059C0: D3E10048 1D2309A4
	v_mfma_f32_16x16x16_bf16 v[72:75], a[166:167], a[134:135], v[72:75]// 0000000059C8: D3E10048 1D230DA6
	v_mfma_f32_16x16x16_bf16 v[76:79], a[160:161], a[136:137], v[76:79]// 0000000059D0: D3E1004C 1D3311A0
	v_mfma_f32_16x16x16_bf16 v[76:79], a[162:163], a[138:139], v[76:79]// 0000000059D8: D3E1004C 1D3315A2
	v_mfma_f32_16x16x16_bf16 v[76:79], a[164:165], a[140:141], v[76:79]// 0000000059E0: D3E1004C 1D3319A4
	v_mfma_f32_16x16x16_bf16 v[76:79], a[166:167], a[142:143], v[76:79]// 0000000059E8: D3E1004C 1D331DA6
	v_mfma_f32_16x16x16_bf16 v[80:83], a[160:161], a[144:145], v[80:83]// 0000000059F0: D3E10050 1D4321A0
	v_mfma_f32_16x16x16_bf16 v[80:83], a[162:163], a[146:147], v[80:83]// 0000000059F8: D3E10050 1D4325A2
	v_mfma_f32_16x16x16_bf16 v[80:83], a[164:165], a[148:149], v[80:83]// 000000005A00: D3E10050 1D4329A4
	v_mfma_f32_16x16x16_bf16 v[80:83], a[166:167], a[150:151], v[80:83]// 000000005A08: D3E10050 1D432DA6
	v_mfma_f32_16x16x16_bf16 v[84:87], a[160:161], a[152:153], v[84:87]// 000000005A10: D3E10054 1D5331A0
	v_mfma_f32_16x16x16_bf16 v[84:87], a[162:163], a[154:155], v[84:87]// 000000005A18: D3E10054 1D5335A2
	v_mfma_f32_16x16x16_bf16 v[84:87], a[164:165], a[156:157], v[84:87]// 000000005A20: D3E10054 1D5339A4
	v_mfma_f32_16x16x16_bf16 v[84:87], a[166:167], a[158:159], v[84:87]// 000000005A28: D3E10054 1D533DA6
	s_addk_i32 s33, 0x40                                       // 000000005A30: B7210040
	s_cmp_lt_i32 s33, s34                                      // 000000005A34: BF042221
	s_cbranch_scc0 label_0DC8                                  // 000000005A38: BF8401B9
	s_waitcnt vmcnt(22) lgkmcnt(0)                             // 000000005A3C: BF8C4076
	s_barrier                                                  // 000000005A40: BF8A0000
	v_mfma_f32_16x16x16_bf16 v[48:51], a[168:169], a[0:1], v[48:51]// 000000005A44: D3E10030 1CC201A8
	s_add_u32 m0, 0, s47                                       // 000000005A4C: 807C2F80
	buffer_load_dword v23, s[4:7], 0 offen lds                 // 000000005A50: E0511000 80010017
	ds_read_b128 a[80:83], v43 offset:41216                    // 000000005A58: DBFEA100 5000002B
	ds_read_b128 a[84:87], v43 offset:41280                    // 000000005A60: DBFEA140 5400002B
	v_mfma_f32_16x16x16_bf16 v[48:51], a[170:171], a[2:3], v[48:51]// 000000005A68: D3E10030 1CC205AA
	s_add_u32 m0, 0x100, s47                                   // 000000005A70: 807C2FFF 00000100
	buffer_load_dword v24, s[4:7], 0 offen lds                 // 000000005A78: E0511000 80010018
	v_mfma_f32_16x16x16_bf16 v[48:51], a[172:173], a[4:5], v[48:51]// 000000005A80: D3E10030 1CC209AC
	s_add_u32 m0, 0x200, s47                                   // 000000005A88: 807C2FFF 00000200
	buffer_load_dword v25, s[4:7], 0 offen lds                 // 000000005A90: E0511000 80010019
	ds_read_b128 a[88:91], v43 offset:41728                    // 000000005A98: DBFEA300 5800002B
	ds_read_b128 a[92:95], v43 offset:41792                    // 000000005AA0: DBFEA340 5C00002B
	v_mfma_f32_16x16x16_bf16 v[48:51], a[174:175], a[6:7], v[48:51]// 000000005AA8: D3E10030 1CC20DAE
	s_add_u32 m0, 0x300, s47                                   // 000000005AB0: 807C2FFF 00000300
	buffer_load_dword v26, s[4:7], 0 offen lds                 // 000000005AB8: E0511000 8001001A
	v_mfma_f32_16x16x16_bf16 v[52:55], a[168:169], a[8:9], v[52:55]// 000000005AC0: D3E10034 1CD211A8
	s_add_u32 m0, 0x400, s47                                   // 000000005AC8: 807C2FFF 00000400
	buffer_load_dword v27, s[4:7], 0 offen lds                 // 000000005AD0: E0511000 8001001B
	ds_read_b128 a[96:99], v43 offset:42240                    // 000000005AD8: DBFEA500 6000002B
	ds_read_b128 a[100:103], v43 offset:42304                  // 000000005AE0: DBFEA540 6400002B
	v_mfma_f32_16x16x16_bf16 v[52:55], a[170:171], a[10:11], v[52:55]// 000000005AE8: D3E10034 1CD215AA
	s_add_u32 m0, 0x500, s47                                   // 000000005AF0: 807C2FFF 00000500
	buffer_load_dword v28, s[4:7], 0 offen lds                 // 000000005AF8: E0511000 8001001C
	v_mfma_f32_16x16x16_bf16 v[52:55], a[172:173], a[12:13], v[52:55]// 000000005B00: D3E10034 1CD219AC
	s_add_u32 m0, 0x600, s47                                   // 000000005B08: 807C2FFF 00000600
	buffer_load_dword v29, s[4:7], 0 offen lds                 // 000000005B10: E0511000 8001001D
	ds_read_b128 a[104:107], v43 offset:42752                  // 000000005B18: DBFEA700 6800002B
	ds_read_b128 a[108:111], v43 offset:42816                  // 000000005B20: DBFEA740 6C00002B
	v_mfma_f32_16x16x16_bf16 v[52:55], a[174:175], a[14:15], v[52:55]// 000000005B28: D3E10034 1CD21DAE
	s_add_u32 m0, 0x700, s47                                   // 000000005B30: 807C2FFF 00000700
	buffer_load_dword v30, s[4:7], 0 offen lds                 // 000000005B38: E0511000 8001001E
	v_mfma_f32_16x16x16_bf16 v[56:59], a[168:169], a[16:17], v[56:59]// 000000005B40: D3E10038 1CE221A8
	s_add_u32 m0, 0x800, s47                                   // 000000005B48: 807C2FFF 00000800
	buffer_load_dword v31, s[4:7], 0 offen lds                 // 000000005B50: E0511000 8001001F
	ds_read_b128 a[112:115], v43 offset:43264                  // 000000005B58: DBFEA900 7000002B
	ds_read_b128 a[116:119], v43 offset:43328                  // 000000005B60: DBFEA940 7400002B
	v_mfma_f32_16x16x16_bf16 v[56:59], a[170:171], a[18:19], v[56:59]// 000000005B68: D3E10038 1CE225AA
	s_add_u32 m0, 0x900, s47                                   // 000000005B70: 807C2FFF 00000900
	buffer_load_dword v32, s[4:7], 0 offen lds                 // 000000005B78: E0511000 80010020
	v_mfma_f32_16x16x16_bf16 v[56:59], a[172:173], a[20:21], v[56:59]// 000000005B80: D3E10038 1CE229AC
	s_add_u32 m0, 0xa00, s47                                   // 000000005B88: 807C2FFF 00000A00
	buffer_load_dword v33, s[4:7], 0 offen lds                 // 000000005B90: E0511000 80010021
	ds_read_b128 a[120:123], v43 offset:43776                  // 000000005B98: DBFEAB00 7800002B
	ds_read_b128 a[124:127], v43 offset:43840                  // 000000005BA0: DBFEAB40 7C00002B
	v_mfma_f32_16x16x16_bf16 v[56:59], a[174:175], a[22:23], v[56:59]// 000000005BA8: D3E10038 1CE22DAE
	s_add_u32 m0, 0xb00, s47                                   // 000000005BB0: 807C2FFF 00000B00
	buffer_load_dword v34, s[4:7], 0 offen lds                 // 000000005BB8: E0511000 80010022
	v_mfma_f32_16x16x16_bf16 v[60:63], a[168:169], a[24:25], v[60:63]// 000000005BC0: D3E1003C 1CF231A8
	s_add_u32 m0, 0xc00, s47                                   // 000000005BC8: 807C2FFF 00000C00
	buffer_load_dword v35, s[4:7], 0 offen lds                 // 000000005BD0: E0511000 80010023
	ds_read_b128 a[128:131], v43 offset:44288                  // 000000005BD8: DBFEAD00 8000002B
	ds_read_b128 a[132:135], v43 offset:44352                  // 000000005BE0: DBFEAD40 8400002B
	v_mfma_f32_16x16x16_bf16 v[60:63], a[170:171], a[26:27], v[60:63]// 000000005BE8: D3E1003C 1CF235AA
	s_add_u32 m0, 0xd00, s47                                   // 000000005BF0: 807C2FFF 00000D00
	buffer_load_dword v36, s[4:7], 0 offen lds                 // 000000005BF8: E0511000 80010024
	v_mfma_f32_16x16x16_bf16 v[60:63], a[172:173], a[28:29], v[60:63]// 000000005C00: D3E1003C 1CF239AC
	s_add_u32 m0, 0xe00, s47                                   // 000000005C08: 807C2FFF 00000E00
	buffer_load_dword v37, s[4:7], 0 offen lds                 // 000000005C10: E0511000 80010025
	ds_read_b128 a[136:139], v43 offset:44800                  // 000000005C18: DBFEAF00 8800002B
	ds_read_b128 a[140:143], v43 offset:44864                  // 000000005C20: DBFEAF40 8C00002B
	v_mfma_f32_16x16x16_bf16 v[60:63], a[174:175], a[30:31], v[60:63]// 000000005C28: D3E1003C 1CF23DAE
	s_add_u32 m0, 0xf00, s47                                   // 000000005C30: 807C2FFF 00000F00
	buffer_load_dword v38, s[4:7], 0 offen lds                 // 000000005C38: E0511000 80010026
	v_mfma_f32_16x16x16_bf16 v[64:67], a[168:169], a[32:33], v[64:67]// 000000005C40: D3E10040 1D0241A8
	s_add_u32 m0, 0x1000, s47                                  // 000000005C48: 807C2FFF 00001000
	buffer_load_dword v39, s[4:7], 0 offen lds                 // 000000005C50: E0511000 80010027
	ds_read_b128 a[144:147], v43 offset:45312                  // 000000005C58: DBFEB100 9000002B
	ds_read_b128 a[148:151], v43 offset:45376                  // 000000005C60: DBFEB140 9400002B
	v_mfma_f32_16x16x16_bf16 v[64:67], a[170:171], a[34:35], v[64:67]// 000000005C68: D3E10040 1D0245AA
	s_add_u32 m0, 0x1100, s47                                  // 000000005C70: 807C2FFF 00001100
	buffer_load_dword v40, s[4:7], 0 offen lds                 // 000000005C78: E0511000 80010028
	v_mfma_f32_16x16x16_bf16 v[64:67], a[172:173], a[36:37], v[64:67]// 000000005C80: D3E10040 1D0249AC
	s_add_u32 m0, 0x1200, s47                                  // 000000005C88: 807C2FFF 00001200
	buffer_load_dword v41, s[4:7], 0 offen lds                 // 000000005C90: E0511000 80010029
	ds_read_b128 a[152:155], v43 offset:45824                  // 000000005C98: DBFEB300 9800002B
	ds_read_b128 a[156:159], v43 offset:45888                  // 000000005CA0: DBFEB340 9C00002B
	v_mfma_f32_16x16x16_bf16 v[64:67], a[174:175], a[38:39], v[64:67]// 000000005CA8: D3E10040 1D024DAE
	s_add_u32 m0, 0x1300, s47                                  // 000000005CB0: 807C2FFF 00001300
	buffer_load_dword v42, s[4:7], 0 offen lds                 // 000000005CB8: E0511000 8001002A
	v_mfma_f32_16x16x16_bf16 v[68:71], a[168:169], a[40:41], v[68:71]// 000000005CC0: D3E10044 1D1251A8
	s_add_u32 s31, 0x100, s33                                  // 000000005CC8: 801F21FF 00000100
	s_cmp_lt_u32 s31, s34                                      // 000000005CD0: BF0A221F
	s_cselect_b32 s44, s44, 0                                  // 000000005CD4: 852C802C
	buffer_load_dwordx4 a[160:163], v44, s[8:11], 0 offen      // 000000005CD8: E05C1000 8082A02C
	s_add_u32 s4, s44, s4                                      // 000000005CE0: 8004042C
	s_addc_u32 s5, 0, s5                                       // 000000005CE4: 82050580
	v_mfma_f32_16x16x16_bf16 v[68:71], a[170:171], a[42:43], v[68:71]// 000000005CE8: D3E10044 1D1255AA
	buffer_load_dwordx4 a[164:167], v45, s[8:11], 0 offen      // 000000005CF0: E05C1000 8082A42D
	v_mfma_f32_16x16x16_bf16 v[68:71], a[172:173], a[44:45], v[68:71]// 000000005CF8: D3E10044 1D1259AC
	s_add_u32 s31, 0xc0, s33                                   // 000000005D00: 801F21FF 000000C0
	s_cmp_lt_u32 s31, s34                                      // 000000005D08: BF0A221F
	s_cselect_b32 s45, s45, 0                                  // 000000005D0C: 852D802D
	s_add_u32 s8, s45, s8                                      // 000000005D10: 8008082D
	s_addc_u32 s9, 0, s9                                       // 000000005D14: 82090980
	v_mfma_f32_16x16x16_bf16 v[68:71], a[174:175], a[46:47], v[68:71]// 000000005D18: D3E10044 1D125DAE
	v_mfma_f32_16x16x16_bf16 v[72:75], a[168:169], a[48:49], v[72:75]// 000000005D20: D3E10048 1D2261A8
	v_mfma_f32_16x16x16_bf16 v[72:75], a[170:171], a[50:51], v[72:75]// 000000005D28: D3E10048 1D2265AA
	v_mfma_f32_16x16x16_bf16 v[72:75], a[172:173], a[52:53], v[72:75]// 000000005D30: D3E10048 1D2269AC
	v_mfma_f32_16x16x16_bf16 v[72:75], a[174:175], a[54:55], v[72:75]// 000000005D38: D3E10048 1D226DAE
	v_mfma_f32_16x16x16_bf16 v[76:79], a[168:169], a[56:57], v[76:79]// 000000005D40: D3E1004C 1D3271A8
	v_mfma_f32_16x16x16_bf16 v[76:79], a[170:171], a[58:59], v[76:79]// 000000005D48: D3E1004C 1D3275AA
	v_mfma_f32_16x16x16_bf16 v[76:79], a[172:173], a[60:61], v[76:79]// 000000005D50: D3E1004C 1D3279AC
	v_mfma_f32_16x16x16_bf16 v[76:79], a[174:175], a[62:63], v[76:79]// 000000005D58: D3E1004C 1D327DAE
	v_mfma_f32_16x16x16_bf16 v[80:83], a[168:169], a[64:65], v[80:83]// 000000005D60: D3E10050 1D4281A8
	v_mfma_f32_16x16x16_bf16 v[80:83], a[170:171], a[66:67], v[80:83]// 000000005D68: D3E10050 1D4285AA
	v_mfma_f32_16x16x16_bf16 v[80:83], a[172:173], a[68:69], v[80:83]// 000000005D70: D3E10050 1D4289AC
	v_mfma_f32_16x16x16_bf16 v[80:83], a[174:175], a[70:71], v[80:83]// 000000005D78: D3E10050 1D428DAE
	v_mfma_f32_16x16x16_bf16 v[84:87], a[168:169], a[72:73], v[84:87]// 000000005D80: D3E10054 1D5291A8
	v_mfma_f32_16x16x16_bf16 v[84:87], a[170:171], a[74:75], v[84:87]// 000000005D88: D3E10054 1D5295AA
	v_mfma_f32_16x16x16_bf16 v[84:87], a[172:173], a[76:77], v[84:87]// 000000005D90: D3E10054 1D5299AC
	v_mfma_f32_16x16x16_bf16 v[84:87], a[174:175], a[78:79], v[84:87]// 000000005D98: D3E10054 1D529DAE
	s_addk_i32 s33, 0x40                                       // 000000005DA0: B7210040
	s_cmp_lt_i32 s33, s34                                      // 000000005DA4: BF042221
	s_cbranch_scc0 label_0DC8                                  // 000000005DA8: BF8400DD
	s_waitcnt vmcnt(22) lgkmcnt(0)                             // 000000005DAC: BF8C4076
	s_barrier                                                  // 000000005DB0: BF8A0000
	v_mfma_f32_16x16x16_bf16 v[48:51], a[176:177], a[80:81], v[48:51]// 000000005DB4: D3E10030 1CC2A1B0
	s_add_u32 m0, 0, s48                                       // 000000005DBC: 807C3080
	buffer_load_dword v23, s[4:7], 0 offen lds                 // 000000005DC0: E0511000 80010017
	ds_read_b128 a[0:3], v43                                   // 000000005DC8: DBFE0000 0000002B
	ds_read_b128 a[4:7], v43 offset:64                         // 000000005DD0: DBFE0040 0400002B
	v_mfma_f32_16x16x16_bf16 v[48:51], a[178:179], a[82:83], v[48:51]// 000000005DD8: D3E10030 1CC2A5B2
	s_add_u32 m0, 0x100, s48                                   // 000000005DE0: 807C30FF 00000100
	buffer_load_dword v24, s[4:7], 0 offen lds                 // 000000005DE8: E0511000 80010018
	v_mfma_f32_16x16x16_bf16 v[48:51], a[180:181], a[84:85], v[48:51]// 000000005DF0: D3E10030 1CC2A9B4
	s_add_u32 m0, 0x200, s48                                   // 000000005DF8: 807C30FF 00000200
	buffer_load_dword v25, s[4:7], 0 offen lds                 // 000000005E00: E0511000 80010019
	ds_read_b128 a[8:11], v43 offset:512                       // 000000005E08: DBFE0200 0800002B
	ds_read_b128 a[12:15], v43 offset:576                      // 000000005E10: DBFE0240 0C00002B
	v_mfma_f32_16x16x16_bf16 v[48:51], a[182:183], a[86:87], v[48:51]// 000000005E18: D3E10030 1CC2ADB6
	s_add_u32 m0, 0x300, s48                                   // 000000005E20: 807C30FF 00000300
	buffer_load_dword v26, s[4:7], 0 offen lds                 // 000000005E28: E0511000 8001001A
	v_mfma_f32_16x16x16_bf16 v[52:55], a[176:177], a[88:89], v[52:55]// 000000005E30: D3E10034 1CD2B1B0
	s_add_u32 m0, 0x400, s48                                   // 000000005E38: 807C30FF 00000400
	buffer_load_dword v27, s[4:7], 0 offen lds                 // 000000005E40: E0511000 8001001B
	ds_read_b128 a[16:19], v43 offset:1024                     // 000000005E48: DBFE0400 1000002B
	ds_read_b128 a[20:23], v43 offset:1088                     // 000000005E50: DBFE0440 1400002B
	v_mfma_f32_16x16x16_bf16 v[52:55], a[178:179], a[90:91], v[52:55]// 000000005E58: D3E10034 1CD2B5B2
	s_add_u32 m0, 0x500, s48                                   // 000000005E60: 807C30FF 00000500
	buffer_load_dword v28, s[4:7], 0 offen lds                 // 000000005E68: E0511000 8001001C
	v_mfma_f32_16x16x16_bf16 v[52:55], a[180:181], a[92:93], v[52:55]// 000000005E70: D3E10034 1CD2B9B4
	s_add_u32 m0, 0x600, s48                                   // 000000005E78: 807C30FF 00000600
	buffer_load_dword v29, s[4:7], 0 offen lds                 // 000000005E80: E0511000 8001001D
	ds_read_b128 a[24:27], v43 offset:1536                     // 000000005E88: DBFE0600 1800002B
	ds_read_b128 a[28:31], v43 offset:1600                     // 000000005E90: DBFE0640 1C00002B
	v_mfma_f32_16x16x16_bf16 v[52:55], a[182:183], a[94:95], v[52:55]// 000000005E98: D3E10034 1CD2BDB6
	s_add_u32 m0, 0x700, s48                                   // 000000005EA0: 807C30FF 00000700
	buffer_load_dword v30, s[4:7], 0 offen lds                 // 000000005EA8: E0511000 8001001E
	v_mfma_f32_16x16x16_bf16 v[56:59], a[176:177], a[96:97], v[56:59]// 000000005EB0: D3E10038 1CE2C1B0
	s_add_u32 m0, 0x800, s48                                   // 000000005EB8: 807C30FF 00000800
	buffer_load_dword v31, s[4:7], 0 offen lds                 // 000000005EC0: E0511000 8001001F
	ds_read_b128 a[32:35], v43 offset:2048                     // 000000005EC8: DBFE0800 2000002B
	ds_read_b128 a[36:39], v43 offset:2112                     // 000000005ED0: DBFE0840 2400002B
	v_mfma_f32_16x16x16_bf16 v[56:59], a[178:179], a[98:99], v[56:59]// 000000005ED8: D3E10038 1CE2C5B2
	s_add_u32 m0, 0x900, s48                                   // 000000005EE0: 807C30FF 00000900
	buffer_load_dword v32, s[4:7], 0 offen lds                 // 000000005EE8: E0511000 80010020
	v_mfma_f32_16x16x16_bf16 v[56:59], a[180:181], a[100:101], v[56:59]// 000000005EF0: D3E10038 1CE2C9B4
	s_add_u32 m0, 0xa00, s48                                   // 000000005EF8: 807C30FF 00000A00
	buffer_load_dword v33, s[4:7], 0 offen lds                 // 000000005F00: E0511000 80010021
	ds_read_b128 a[40:43], v43 offset:2560                     // 000000005F08: DBFE0A00 2800002B
	ds_read_b128 a[44:47], v43 offset:2624                     // 000000005F10: DBFE0A40 2C00002B
	v_mfma_f32_16x16x16_bf16 v[56:59], a[182:183], a[102:103], v[56:59]// 000000005F18: D3E10038 1CE2CDB6
	s_add_u32 m0, 0xb00, s48                                   // 000000005F20: 807C30FF 00000B00
	buffer_load_dword v34, s[4:7], 0 offen lds                 // 000000005F28: E0511000 80010022
	v_mfma_f32_16x16x16_bf16 v[60:63], a[176:177], a[104:105], v[60:63]// 000000005F30: D3E1003C 1CF2D1B0
	s_add_u32 m0, 0xc00, s48                                   // 000000005F38: 807C30FF 00000C00
	buffer_load_dword v35, s[4:7], 0 offen lds                 // 000000005F40: E0511000 80010023
	ds_read_b128 a[48:51], v43 offset:3072                     // 000000005F48: DBFE0C00 3000002B
	ds_read_b128 a[52:55], v43 offset:3136                     // 000000005F50: DBFE0C40 3400002B
	v_mfma_f32_16x16x16_bf16 v[60:63], a[178:179], a[106:107], v[60:63]// 000000005F58: D3E1003C 1CF2D5B2
	s_add_u32 m0, 0xd00, s48                                   // 000000005F60: 807C30FF 00000D00
	buffer_load_dword v36, s[4:7], 0 offen lds                 // 000000005F68: E0511000 80010024
	v_mfma_f32_16x16x16_bf16 v[60:63], a[180:181], a[108:109], v[60:63]// 000000005F70: D3E1003C 1CF2D9B4
	s_add_u32 m0, 0xe00, s48                                   // 000000005F78: 807C30FF 00000E00
	buffer_load_dword v37, s[4:7], 0 offen lds                 // 000000005F80: E0511000 80010025
	ds_read_b128 a[56:59], v43 offset:3584                     // 000000005F88: DBFE0E00 3800002B
	ds_read_b128 a[60:63], v43 offset:3648                     // 000000005F90: DBFE0E40 3C00002B
	v_mfma_f32_16x16x16_bf16 v[60:63], a[182:183], a[110:111], v[60:63]// 000000005F98: D3E1003C 1CF2DDB6
	s_add_u32 m0, 0xf00, s48                                   // 000000005FA0: 807C30FF 00000F00
	buffer_load_dword v38, s[4:7], 0 offen lds                 // 000000005FA8: E0511000 80010026
	v_mfma_f32_16x16x16_bf16 v[64:67], a[176:177], a[112:113], v[64:67]// 000000005FB0: D3E10040 1D02E1B0
	s_add_u32 m0, 0x1000, s48                                  // 000000005FB8: 807C30FF 00001000
	buffer_load_dword v39, s[4:7], 0 offen lds                 // 000000005FC0: E0511000 80010027
	ds_read_b128 a[64:67], v43 offset:4096                     // 000000005FC8: DBFE1000 4000002B
	ds_read_b128 a[68:71], v43 offset:4160                     // 000000005FD0: DBFE1040 4400002B
	v_mfma_f32_16x16x16_bf16 v[64:67], a[178:179], a[114:115], v[64:67]// 000000005FD8: D3E10040 1D02E5B2
	s_add_u32 m0, 0x1100, s48                                  // 000000005FE0: 807C30FF 00001100
	buffer_load_dword v40, s[4:7], 0 offen lds                 // 000000005FE8: E0511000 80010028
	v_mfma_f32_16x16x16_bf16 v[64:67], a[180:181], a[116:117], v[64:67]// 000000005FF0: D3E10040 1D02E9B4
	s_add_u32 m0, 0x1200, s48                                  // 000000005FF8: 807C30FF 00001200
	buffer_load_dword v41, s[4:7], 0 offen lds                 // 000000006000: E0511000 80010029
	ds_read_b128 a[72:75], v43 offset:4608                     // 000000006008: DBFE1200 4800002B
	ds_read_b128 a[76:79], v43 offset:4672                     // 000000006010: DBFE1240 4C00002B
	v_mfma_f32_16x16x16_bf16 v[64:67], a[182:183], a[118:119], v[64:67]// 000000006018: D3E10040 1D02EDB6
	s_add_u32 m0, 0x1300, s48                                  // 000000006020: 807C30FF 00001300
	buffer_load_dword v42, s[4:7], 0 offen lds                 // 000000006028: E0511000 8001002A
	v_mfma_f32_16x16x16_bf16 v[68:71], a[176:177], a[120:121], v[68:71]// 000000006030: D3E10044 1D12F1B0
	s_add_u32 s31, 0x100, s33                                  // 000000006038: 801F21FF 00000100
	s_cmp_lt_u32 s31, s34                                      // 000000006040: BF0A221F
	s_cselect_b32 s44, s44, 0                                  // 000000006044: 852C802C
	buffer_load_dwordx4 a[168:171], v44, s[8:11], 0 offen      // 000000006048: E05C1000 8082A82C
	s_add_u32 s4, s44, s4                                      // 000000006050: 8004042C
	s_addc_u32 s5, 0, s5                                       // 000000006054: 82050580
	v_mfma_f32_16x16x16_bf16 v[68:71], a[178:179], a[122:123], v[68:71]// 000000006058: D3E10044 1D12F5B2
	buffer_load_dwordx4 a[172:175], v45, s[8:11], 0 offen      // 000000006060: E05C1000 8082AC2D
	v_mfma_f32_16x16x16_bf16 v[68:71], a[180:181], a[124:125], v[68:71]// 000000006068: D3E10044 1D12F9B4
	s_add_u32 s31, 0xc0, s33                                   // 000000006070: 801F21FF 000000C0
	s_cmp_lt_u32 s31, s34                                      // 000000006078: BF0A221F
	s_cselect_b32 s45, s45, 0                                  // 00000000607C: 852D802D
	s_add_u32 s8, s45, s8                                      // 000000006080: 8008082D
	s_addc_u32 s9, 0, s9                                       // 000000006084: 82090980
	v_mfma_f32_16x16x16_bf16 v[68:71], a[182:183], a[126:127], v[68:71]// 000000006088: D3E10044 1D12FDB6
	v_mfma_f32_16x16x16_bf16 v[72:75], a[176:177], a[128:129], v[72:75]// 000000006090: D3E10048 1D2301B0
	v_mfma_f32_16x16x16_bf16 v[72:75], a[178:179], a[130:131], v[72:75]// 000000006098: D3E10048 1D2305B2
	v_mfma_f32_16x16x16_bf16 v[72:75], a[180:181], a[132:133], v[72:75]// 0000000060A0: D3E10048 1D2309B4
	v_mfma_f32_16x16x16_bf16 v[72:75], a[182:183], a[134:135], v[72:75]// 0000000060A8: D3E10048 1D230DB6
	v_mfma_f32_16x16x16_bf16 v[76:79], a[176:177], a[136:137], v[76:79]// 0000000060B0: D3E1004C 1D3311B0
	v_mfma_f32_16x16x16_bf16 v[76:79], a[178:179], a[138:139], v[76:79]// 0000000060B8: D3E1004C 1D3315B2
	v_mfma_f32_16x16x16_bf16 v[76:79], a[180:181], a[140:141], v[76:79]// 0000000060C0: D3E1004C 1D3319B4
	v_mfma_f32_16x16x16_bf16 v[76:79], a[182:183], a[142:143], v[76:79]// 0000000060C8: D3E1004C 1D331DB6
	v_mfma_f32_16x16x16_bf16 v[80:83], a[176:177], a[144:145], v[80:83]// 0000000060D0: D3E10050 1D4321B0
	v_mfma_f32_16x16x16_bf16 v[80:83], a[178:179], a[146:147], v[80:83]// 0000000060D8: D3E10050 1D4325B2
	v_mfma_f32_16x16x16_bf16 v[80:83], a[180:181], a[148:149], v[80:83]// 0000000060E0: D3E10050 1D4329B4
	v_mfma_f32_16x16x16_bf16 v[80:83], a[182:183], a[150:151], v[80:83]// 0000000060E8: D3E10050 1D432DB6
	v_mfma_f32_16x16x16_bf16 v[84:87], a[176:177], a[152:153], v[84:87]// 0000000060F0: D3E10054 1D5331B0
	v_mfma_f32_16x16x16_bf16 v[84:87], a[178:179], a[154:155], v[84:87]// 0000000060F8: D3E10054 1D5335B2
	v_mfma_f32_16x16x16_bf16 v[84:87], a[180:181], a[156:157], v[84:87]// 000000006100: D3E10054 1D5339B4
	v_mfma_f32_16x16x16_bf16 v[84:87], a[182:183], a[158:159], v[84:87]// 000000006108: D3E10054 1D533DB6
	s_addk_i32 s33, 0x40                                       // 000000006110: B7210040
	s_cmp_lt_i32 s33, s34                                      // 000000006114: BF042221
	s_cbranch_scc0 label_0DC8                                  // 000000006118: BF840001
	s_branch label_089F                                        // 00000000611C: BF82FAD7

0000000000006120 <label_0DC8>:
	s_cmp_le_u32 s52, 1                                        // 000000006120: BF0B8134
	s_cbranch_scc1 label_15A8                                  // 000000006124: BF8507DE
	s_mov_b32 s31, 0xa0                                        // 000000006128: BE9F00FF 000000A0
	s_cmp_lt_u32 s55, s31                                      // 000000006130: BF0A1F37
	s_cbranch_scc1 label_10CF                                  // 000000006134: BF850301
	v_mov_b32_e32 v5, 0                                        // 000000006138: 7E0A0280
	s_and_b32 s17, s17, 0xffff                                 // 00000000613C: 8611FF11 0000FFFF
	s_cmp_lt_u32 s54, 1                                        // 000000006144: BF0A8136
	s_cbranch_scc0 label_0F00                                  // 000000006148: BF84012D
	v_lshrrev_b32_e32 v4, 4, v0                                // 00000000614C: 20080084
	v_mul_u32_u24_e32 v43, 0x44, v4                            // 000000006150: 105608FF 00000044
	v_and_b32_e32 v4, 15, v0                                   // 000000006158: 2608008F
	v_mul_lo_u32 v5, 4, v4                                     // 00000000615C: D2850005 00020884
	v_add_u32_e32 v43, v5, v43                                 // 000000006164: 68565705
	s_mul_i32 s31, s24, 0x110                                  // 000000006168: 921FFF18 00000110
	v_add_u32_e32 v43, s31, v43                                // 000000006170: 6856561F
	v_lshlrev_b32_e32 v43, 2, v43                              // 000000006174: 24565682
	v_lshrrev_b32_e32 v4, 2, v0                                // 000000006178: 20080082
	v_mul_u32_u24_e32 v46, 0x44, v4                            // 00000000617C: 105C08FF 00000044
	v_and_b32_e32 v4, 3, v0                                    // 000000006184: 26080083
	v_add_u32_e32 v46, v4, v46                                 // 000000006188: 685C5D04
	s_mul_i32 s31, s24, 4                                      // 00000000618C: 921F8418
	v_add_u32_e32 v46, s31, v46                                // 000000006190: 685C5C1F
	v_lshlrev_b32_e32 v46, 2, v46                              // 000000006194: 245C5C82
	s_waitcnt vmcnt(0) expcnt(0) lgkmcnt(0)                    // 000000006198: BF8C0000
	s_barrier                                                  // 00000000619C: BF8A0000
	ds_write_b128 v43, v[48:51]                                // 0000000061A0: D9BE0000 0000302B
	ds_write_b128 v43, v[52:55] offset:4352                    // 0000000061A8: D9BE1100 0000342B
	ds_write_b128 v43, v[56:59] offset:8704                    // 0000000061B0: D9BE2200 0000382B
	ds_write_b128 v43, v[60:63] offset:13056                   // 0000000061B8: D9BE3300 00003C2B
	ds_write_b128 v43, v[64:67] offset:17408                   // 0000000061C0: D9BE4400 0000402B
	ds_write_b128 v43, v[68:71] offset:21760                   // 0000000061C8: D9BE5500 0000442B
	ds_write_b128 v43, v[72:75] offset:26112                   // 0000000061D0: D9BE6600 0000482B
	ds_write_b128 v43, v[76:79] offset:30464                   // 0000000061D8: D9BE7700 00004C2B
	ds_write_b128 v43, v[80:83] offset:34816                   // 0000000061E0: D9BE8800 0000502B
	ds_write_b128 v43, v[84:87] offset:39168                   // 0000000061E8: D9BE9900 0000542B
	s_waitcnt lgkmcnt(0)                                       // 0000000061F0: BF8CC07F
	s_barrier                                                  // 0000000061F4: BF8A0000
	ds_read_b32 v48, v46                                       // 0000000061F8: D86C0000 3000002E
	ds_read_b32 v49, v46 offset:64                             // 000000006200: D86C0040 3100002E
	ds_read_b32 v50, v46 offset:128                            // 000000006208: D86C0080 3200002E
	ds_read_b32 v51, v46 offset:192                            // 000000006210: D86C00C0 3300002E
	ds_read_b32 v52, v46 offset:4352                           // 000000006218: D86C1100 3400002E
	ds_read_b32 v53, v46 offset:4416                           // 000000006220: D86C1140 3500002E
	ds_read_b32 v54, v46 offset:4480                           // 000000006228: D86C1180 3600002E
	ds_read_b32 v55, v46 offset:4544                           // 000000006230: D86C11C0 3700002E
	ds_read_b32 v56, v46 offset:8704                           // 000000006238: D86C2200 3800002E
	ds_read_b32 v57, v46 offset:8768                           // 000000006240: D86C2240 3900002E
	ds_read_b32 v58, v46 offset:8832                           // 000000006248: D86C2280 3A00002E
	ds_read_b32 v59, v46 offset:8896                           // 000000006250: D86C22C0 3B00002E
	ds_read_b32 v60, v46 offset:13056                          // 000000006258: D86C3300 3C00002E
	ds_read_b32 v61, v46 offset:13120                          // 000000006260: D86C3340 3D00002E
	ds_read_b32 v62, v46 offset:13184                          // 000000006268: D86C3380 3E00002E
	ds_read_b32 v63, v46 offset:13248                          // 000000006270: D86C33C0 3F00002E
	ds_read_b32 v64, v46 offset:17408                          // 000000006278: D86C4400 4000002E
	ds_read_b32 v65, v46 offset:17472                          // 000000006280: D86C4440 4100002E
	ds_read_b32 v66, v46 offset:17536                          // 000000006288: D86C4480 4200002E
	ds_read_b32 v67, v46 offset:17600                          // 000000006290: D86C44C0 4300002E
	ds_read_b32 v68, v46 offset:21760                          // 000000006298: D86C5500 4400002E
	ds_read_b32 v69, v46 offset:21824                          // 0000000062A0: D86C5540 4500002E
	ds_read_b32 v70, v46 offset:21888                          // 0000000062A8: D86C5580 4600002E
	ds_read_b32 v71, v46 offset:21952                          // 0000000062B0: D86C55C0 4700002E
	ds_read_b32 v72, v46 offset:26112                          // 0000000062B8: D86C6600 4800002E
	ds_read_b32 v73, v46 offset:26176                          // 0000000062C0: D86C6640 4900002E
	ds_read_b32 v74, v46 offset:26240                          // 0000000062C8: D86C6680 4A00002E
	ds_read_b32 v75, v46 offset:26304                          // 0000000062D0: D86C66C0 4B00002E
	ds_read_b32 v76, v46 offset:30464                          // 0000000062D8: D86C7700 4C00002E
	ds_read_b32 v77, v46 offset:30528                          // 0000000062E0: D86C7740 4D00002E
	ds_read_b32 v78, v46 offset:30592                          // 0000000062E8: D86C7780 4E00002E
	ds_read_b32 v79, v46 offset:30656                          // 0000000062F0: D86C77C0 4F00002E
	ds_read_b32 v80, v46 offset:34816                          // 0000000062F8: D86C8800 5000002E
	ds_read_b32 v81, v46 offset:34880                          // 000000006300: D86C8840 5100002E
	ds_read_b32 v82, v46 offset:34944                          // 000000006308: D86C8880 5200002E
	ds_read_b32 v83, v46 offset:35008                          // 000000006310: D86C88C0 5300002E
	ds_read_b32 v84, v46 offset:39168                          // 000000006318: D86C9900 5400002E
	ds_read_b32 v85, v46 offset:39232                          // 000000006320: D86C9940 5500002E
	ds_read_b32 v86, v46 offset:39296                          // 000000006328: D86C9980 5600002E
	ds_read_b32 v87, v46 offset:39360                          // 000000006330: D86C99C0 5700002E
	s_waitcnt lgkmcnt(0)                                       // 000000006338: BF8CC07F
	s_cmp_eq_u32 s24, 0                                        // 00000000633C: BF068018
	s_cbranch_scc0 label_0E57                                  // 000000006340: BF840006
	s_mov_b32 s31, 0                                           // 000000006344: BE9F0080

0000000000006348 <label_0E52>:
	s_load_dword s32, s[40:41], s62 glc                        // 000000006348: C0010814 0000003E
	s_waitcnt lgkmcnt(0)                                       // 000000006350: BF8CC07F
	s_cmp_gt_u32 s32, s31                                      // 000000006354: BF081F20
	s_cbranch_scc0 label_0E52                                  // 000000006358: BF84FFFB

000000000000635c <label_0E57>:
	s_barrier                                                  // 00000000635C: BF8A0000
	s_mul_i32 s31, s30, 4                                      // 000000006360: 921F841E
	v_mov_b32_e32 v4, v22                                      // 000000006364: 7E080316
	global_atomic_add_f32 v4, v48, s[16:17]                    // 000000006368: DD348000 00103004
	v_add_u32_e64 v4, v4, s31                                  // 000000006370: D1340004 00003F04
	global_atomic_add_f32 v4, v49, s[16:17]                    // 000000006378: DD348000 00103104
	v_add_u32_e64 v4, v4, s31                                  // 000000006380: D1340004 00003F04
	;; [unrolled: 2-line block ×3, first 2 shown]
	global_atomic_add_f32 v4, v51, s[16:17]                    // 000000006398: DD348000 00103304
	v_add_u32_e64 v4, v4, s31                                  // 0000000063A0: D1340004 00003F04
	global_atomic_add_f32 v4, v52, s[16:17]                    // 0000000063A8: DD348000 00103404
	v_add_u32_e64 v4, v4, s31                                  // 0000000063B0: D1340004 00003F04
	global_atomic_add_f32 v4, v53, s[16:17]                    // 0000000063B8: DD348000 00103504
	v_add_u32_e64 v4, v4, s31                                  // 0000000063C0: D1340004 00003F04
	global_atomic_add_f32 v4, v54, s[16:17]                    // 0000000063C8: DD348000 00103604
	v_add_u32_e64 v4, v4, s31                                  // 0000000063D0: D1340004 00003F04
	global_atomic_add_f32 v4, v55, s[16:17]                    // 0000000063D8: DD348000 00103704
	v_add_u32_e64 v4, v4, s31                                  // 0000000063E0: D1340004 00003F04
	global_atomic_add_f32 v4, v56, s[16:17]                    // 0000000063E8: DD348000 00103804
	v_add_u32_e64 v4, v4, s31                                  // 0000000063F0: D1340004 00003F04
	global_atomic_add_f32 v4, v57, s[16:17]                    // 0000000063F8: DD348000 00103904
	v_add_u32_e64 v4, v4, s31                                  // 000000006400: D1340004 00003F04
	global_atomic_add_f32 v4, v58, s[16:17]                    // 000000006408: DD348000 00103A04
	v_add_u32_e64 v4, v4, s31                                  // 000000006410: D1340004 00003F04
	global_atomic_add_f32 v4, v59, s[16:17]                    // 000000006418: DD348000 00103B04
	v_add_u32_e64 v4, v4, s31                                  // 000000006420: D1340004 00003F04
	global_atomic_add_f32 v4, v60, s[16:17]                    // 000000006428: DD348000 00103C04
	v_add_u32_e64 v4, v4, s31                                  // 000000006430: D1340004 00003F04
	global_atomic_add_f32 v4, v61, s[16:17]                    // 000000006438: DD348000 00103D04
	v_add_u32_e64 v4, v4, s31                                  // 000000006440: D1340004 00003F04
	global_atomic_add_f32 v4, v62, s[16:17]                    // 000000006448: DD348000 00103E04
	v_add_u32_e64 v4, v4, s31                                  // 000000006450: D1340004 00003F04
	global_atomic_add_f32 v4, v63, s[16:17]                    // 000000006458: DD348000 00103F04
	v_add_u32_e64 v4, v4, s31                                  // 000000006460: D1340004 00003F04
	global_atomic_add_f32 v4, v64, s[16:17]                    // 000000006468: DD348000 00104004
	v_add_u32_e64 v4, v4, s31                                  // 000000006470: D1340004 00003F04
	global_atomic_add_f32 v4, v65, s[16:17]                    // 000000006478: DD348000 00104104
	;; [unrolled: 2-line block ×4, first 2 shown]
	v_add_u32_e64 v4, v4, s31                                  // 0000000064A0: D1340004 00003F04
	global_atomic_add_f32 v4, v68, s[16:17]                    // 0000000064A8: DD348000 00104404
	v_add_u32_e64 v4, v4, s31                                  // 0000000064B0: D1340004 00003F04
	global_atomic_add_f32 v4, v69, s[16:17]                    // 0000000064B8: DD348000 00104504
	v_add_u32_e64 v4, v4, s31                                  // 0000000064C0: D1340004 00003F04
	global_atomic_add_f32 v4, v70, s[16:17]                    // 0000000064C8: DD348000 00104604
	v_add_u32_e64 v4, v4, s31                                  // 0000000064D0: D1340004 00003F04
	global_atomic_add_f32 v4, v71, s[16:17]                    // 0000000064D8: DD348000 00104704
	v_add_u32_e64 v4, v4, s31                                  // 0000000064E0: D1340004 00003F04
	global_atomic_add_f32 v4, v72, s[16:17]                    // 0000000064E8: DD348000 00104804
	v_add_u32_e64 v4, v4, s31                                  // 0000000064F0: D1340004 00003F04
	global_atomic_add_f32 v4, v73, s[16:17]                    // 0000000064F8: DD348000 00104904
	v_add_u32_e64 v4, v4, s31                                  // 000000006500: D1340004 00003F04
	global_atomic_add_f32 v4, v74, s[16:17]                    // 000000006508: DD348000 00104A04
	v_add_u32_e64 v4, v4, s31                                  // 000000006510: D1340004 00003F04
	global_atomic_add_f32 v4, v75, s[16:17]                    // 000000006518: DD348000 00104B04
	v_add_u32_e64 v4, v4, s31                                  // 000000006520: D1340004 00003F04
	global_atomic_add_f32 v4, v76, s[16:17]                    // 000000006528: DD348000 00104C04
	v_add_u32_e64 v4, v4, s31                                  // 000000006530: D1340004 00003F04
	global_atomic_add_f32 v4, v77, s[16:17]                    // 000000006538: DD348000 00104D04
	v_add_u32_e64 v4, v4, s31                                  // 000000006540: D1340004 00003F04
	global_atomic_add_f32 v4, v78, s[16:17]                    // 000000006548: DD348000 00104E04
	v_add_u32_e64 v4, v4, s31                                  // 000000006550: D1340004 00003F04
	global_atomic_add_f32 v4, v79, s[16:17]                    // 000000006558: DD348000 00104F04
	v_add_u32_e64 v4, v4, s31                                  // 000000006560: D1340004 00003F04
	global_atomic_add_f32 v4, v80, s[16:17]                    // 000000006568: DD348000 00105004
	v_add_u32_e64 v4, v4, s31                                  // 000000006570: D1340004 00003F04
	global_atomic_add_f32 v4, v81, s[16:17]                    // 000000006578: DD348000 00105104
	;; [unrolled: 2-line block ×4, first 2 shown]
	v_add_u32_e64 v4, v4, s31                                  // 0000000065A0: D1340004 00003F04
	global_atomic_add_f32 v4, v84, s[16:17]                    // 0000000065A8: DD348000 00105404
	v_add_u32_e64 v4, v4, s31                                  // 0000000065B0: D1340004 00003F04
	global_atomic_add_f32 v4, v85, s[16:17]                    // 0000000065B8: DD348000 00105504
	v_add_u32_e64 v4, v4, s31                                  // 0000000065C0: D1340004 00003F04
	global_atomic_add_f32 v4, v86, s[16:17]                    // 0000000065C8: DD348000 00105604
	v_add_u32_e64 v4, v4, s31                                  // 0000000065D0: D1340004 00003F04
	global_atomic_add_f32 v4, v87, s[16:17]                    // 0000000065D8: DD348000 00105704
	v_add_u32_e64 v4, v4, s31                                  // 0000000065E0: D1340004 00003F04
	s_barrier                                                  // 0000000065E8: BF8A0000
	s_cmp_eq_u32 s24, 0                                        // 0000000065EC: BF068018
	s_cbranch_scc0 label_16EB                                  // 0000000065F0: BF8407EE
	s_atomic_dec s52, s[40:41], s62                            // 0000000065F4: C2300D14 0000003E
	s_branch label_16EB                                        // 0000000065FC: BF8207EB

0000000000006600 <label_0F00>:
	v_lshrrev_b32_e32 v4, 4, v0                                // 000000006600: 20080084
	v_mul_u32_u24_e32 v43, 34, v4                              // 000000006604: 105608A2
	v_and_b32_e32 v4, 15, v0                                   // 000000006608: 2608008F
	v_mul_lo_u32 v5, 2, v4                                     // 00000000660C: D2850005 00020882
	v_add_u32_e32 v43, v5, v43                                 // 000000006614: 68565705
	s_mul_i32 s31, s24, 0x88                                   // 000000006618: 921FFF18 00000088
	v_add_u32_e32 v43, s31, v43                                // 000000006620: 6856561F
	v_lshlrev_b32_e32 v43, 2, v43                              // 000000006624: 24565682
	v_and_b32_e32 v4, 31, v0                                   // 000000006628: 2608009F
	v_lshrrev_b32_e32 v5, 1, v4                                // 00000000662C: 200A0881
	v_mul_u32_u24_e32 v46, 34, v5                              // 000000006630: 105C0AA2
	v_and_b32_e32 v5, 1, v4                                    // 000000006634: 260A0881
	v_add_u32_e32 v46, v5, v46                                 // 000000006638: 685C5D05
	v_lshrrev_b32_e32 v4, 5, v0                                // 00000000663C: 20080085
	v_mul_u32_u24_e32 v4, 8, v4                                // 000000006640: 10080888
	v_add_u32_e32 v46, v4, v46                                 // 000000006644: 685C5D04
	s_mul_i32 s31, s24, 2                                      // 000000006648: 921F8218
	v_add_u32_e32 v46, s31, v46                                // 00000000664C: 685C5C1F
	v_lshlrev_b32_e32 v46, 2, v46                              // 000000006650: 245C5C82
	s_waitcnt vmcnt(0) expcnt(0) lgkmcnt(0)                    // 000000006654: BF8C0000
	s_barrier                                                  // 000000006658: BF8A0000
	v_cmp_u_f32_e64 s[60:61], v48, v48                         // 00000000665C: D048003C 00026130
	v_add3_u32 v8, v48, v11, 1                                 // 000000006664: D1FF0008 02061730
	v_cndmask_b32_e64 v4, v8, v10, s[60:61]                    // 00000000666C: D1000004 00F21508
	v_cmp_u_f32_e64 s[60:61], v49, v49                         // 000000006674: D048003C 00026331
	v_add3_u32 v8, v49, v11, 1                                 // 00000000667C: D1FF0008 02061731
	v_cndmask_b32_e64 v5, v8, v10, s[60:61]                    // 000000006684: D1000005 00F21508
	v_perm_b32 v88, v5, v4, s35                                // 00000000668C: D1ED0058 008E0905
	v_cmp_u_f32_e64 s[60:61], v50, v50                         // 000000006694: D048003C 00026532
	v_add3_u32 v8, v50, v11, 1                                 // 00000000669C: D1FF0008 02061732
	v_cndmask_b32_e64 v4, v8, v10, s[60:61]                    // 0000000066A4: D1000004 00F21508
	v_cmp_u_f32_e64 s[60:61], v51, v51                         // 0000000066AC: D048003C 00026733
	v_add3_u32 v8, v51, v11, 1                                 // 0000000066B4: D1FF0008 02061733
	v_cndmask_b32_e64 v5, v8, v10, s[60:61]                    // 0000000066BC: D1000005 00F21508
	v_perm_b32 v89, v5, v4, s35                                // 0000000066C4: D1ED0059 008E0905
	v_cmp_u_f32_e64 s[60:61], v52, v52                         // 0000000066CC: D048003C 00026934
	v_add3_u32 v8, v52, v11, 1                                 // 0000000066D4: D1FF0008 02061734
	v_cndmask_b32_e64 v4, v8, v10, s[60:61]                    // 0000000066DC: D1000004 00F21508
	v_cmp_u_f32_e64 s[60:61], v53, v53                         // 0000000066E4: D048003C 00026B35
	v_add3_u32 v8, v53, v11, 1                                 // 0000000066EC: D1FF0008 02061735
	v_cndmask_b32_e64 v5, v8, v10, s[60:61]                    // 0000000066F4: D1000005 00F21508
	v_perm_b32 v90, v5, v4, s35                                // 0000000066FC: D1ED005A 008E0905
	v_cmp_u_f32_e64 s[60:61], v54, v54                         // 000000006704: D048003C 00026D36
	v_add3_u32 v8, v54, v11, 1                                 // 00000000670C: D1FF0008 02061736
	v_cndmask_b32_e64 v4, v8, v10, s[60:61]                    // 000000006714: D1000004 00F21508
	v_cmp_u_f32_e64 s[60:61], v55, v55                         // 00000000671C: D048003C 00026F37
	v_add3_u32 v8, v55, v11, 1                                 // 000000006724: D1FF0008 02061737
	v_cndmask_b32_e64 v5, v8, v10, s[60:61]                    // 00000000672C: D1000005 00F21508
	v_perm_b32 v91, v5, v4, s35                                // 000000006734: D1ED005B 008E0905
	v_cmp_u_f32_e64 s[60:61], v56, v56                         // 00000000673C: D048003C 00027138
	v_add3_u32 v8, v56, v11, 1                                 // 000000006744: D1FF0008 02061738
	v_cndmask_b32_e64 v4, v8, v10, s[60:61]                    // 00000000674C: D1000004 00F21508
	v_cmp_u_f32_e64 s[60:61], v57, v57                         // 000000006754: D048003C 00027339
	v_add3_u32 v8, v57, v11, 1                                 // 00000000675C: D1FF0008 02061739
	v_cndmask_b32_e64 v5, v8, v10, s[60:61]                    // 000000006764: D1000005 00F21508
	v_perm_b32 v92, v5, v4, s35                                // 00000000676C: D1ED005C 008E0905
	v_cmp_u_f32_e64 s[60:61], v58, v58                         // 000000006774: D048003C 0002753A
	v_add3_u32 v8, v58, v11, 1                                 // 00000000677C: D1FF0008 0206173A
	v_cndmask_b32_e64 v4, v8, v10, s[60:61]                    // 000000006784: D1000004 00F21508
	v_cmp_u_f32_e64 s[60:61], v59, v59                         // 00000000678C: D048003C 0002773B
	v_add3_u32 v8, v59, v11, 1                                 // 000000006794: D1FF0008 0206173B
	v_cndmask_b32_e64 v5, v8, v10, s[60:61]                    // 00000000679C: D1000005 00F21508
	v_perm_b32 v93, v5, v4, s35                                // 0000000067A4: D1ED005D 008E0905
	v_cmp_u_f32_e64 s[60:61], v60, v60                         // 0000000067AC: D048003C 0002793C
	v_add3_u32 v8, v60, v11, 1                                 // 0000000067B4: D1FF0008 0206173C
	v_cndmask_b32_e64 v4, v8, v10, s[60:61]                    // 0000000067BC: D1000004 00F21508
	v_cmp_u_f32_e64 s[60:61], v61, v61                         // 0000000067C4: D048003C 00027B3D
	v_add3_u32 v8, v61, v11, 1                                 // 0000000067CC: D1FF0008 0206173D
	v_cndmask_b32_e64 v5, v8, v10, s[60:61]                    // 0000000067D4: D1000005 00F21508
	v_perm_b32 v94, v5, v4, s35                                // 0000000067DC: D1ED005E 008E0905
	v_cmp_u_f32_e64 s[60:61], v62, v62                         // 0000000067E4: D048003C 00027D3E
	v_add3_u32 v8, v62, v11, 1                                 // 0000000067EC: D1FF0008 0206173E
	v_cndmask_b32_e64 v4, v8, v10, s[60:61]                    // 0000000067F4: D1000004 00F21508
	v_cmp_u_f32_e64 s[60:61], v63, v63                         // 0000000067FC: D048003C 00027F3F
	v_add3_u32 v8, v63, v11, 1                                 // 000000006804: D1FF0008 0206173F
	v_cndmask_b32_e64 v5, v8, v10, s[60:61]                    // 00000000680C: D1000005 00F21508
	v_perm_b32 v95, v5, v4, s35                                // 000000006814: D1ED005F 008E0905
	v_cmp_u_f32_e64 s[60:61], v64, v64                         // 00000000681C: D048003C 00028140
	v_add3_u32 v8, v64, v11, 1                                 // 000000006824: D1FF0008 02061740
	v_cndmask_b32_e64 v4, v8, v10, s[60:61]                    // 00000000682C: D1000004 00F21508
	v_cmp_u_f32_e64 s[60:61], v65, v65                         // 000000006834: D048003C 00028341
	v_add3_u32 v8, v65, v11, 1                                 // 00000000683C: D1FF0008 02061741
	v_cndmask_b32_e64 v5, v8, v10, s[60:61]                    // 000000006844: D1000005 00F21508
	v_perm_b32 v96, v5, v4, s35                                // 00000000684C: D1ED0060 008E0905
	v_cmp_u_f32_e64 s[60:61], v66, v66                         // 000000006854: D048003C 00028542
	v_add3_u32 v8, v66, v11, 1                                 // 00000000685C: D1FF0008 02061742
	v_cndmask_b32_e64 v4, v8, v10, s[60:61]                    // 000000006864: D1000004 00F21508
	v_cmp_u_f32_e64 s[60:61], v67, v67                         // 00000000686C: D048003C 00028743
	v_add3_u32 v8, v67, v11, 1                                 // 000000006874: D1FF0008 02061743
	v_cndmask_b32_e64 v5, v8, v10, s[60:61]                    // 00000000687C: D1000005 00F21508
	v_perm_b32 v97, v5, v4, s35                                // 000000006884: D1ED0061 008E0905
	v_cmp_u_f32_e64 s[60:61], v68, v68                         // 00000000688C: D048003C 00028944
	v_add3_u32 v8, v68, v11, 1                                 // 000000006894: D1FF0008 02061744
	v_cndmask_b32_e64 v4, v8, v10, s[60:61]                    // 00000000689C: D1000004 00F21508
	v_cmp_u_f32_e64 s[60:61], v69, v69                         // 0000000068A4: D048003C 00028B45
	v_add3_u32 v8, v69, v11, 1                                 // 0000000068AC: D1FF0008 02061745
	v_cndmask_b32_e64 v5, v8, v10, s[60:61]                    // 0000000068B4: D1000005 00F21508
	v_perm_b32 v98, v5, v4, s35                                // 0000000068BC: D1ED0062 008E0905
	v_cmp_u_f32_e64 s[60:61], v70, v70                         // 0000000068C4: D048003C 00028D46
	v_add3_u32 v8, v70, v11, 1                                 // 0000000068CC: D1FF0008 02061746
	v_cndmask_b32_e64 v4, v8, v10, s[60:61]                    // 0000000068D4: D1000004 00F21508
	v_cmp_u_f32_e64 s[60:61], v71, v71                         // 0000000068DC: D048003C 00028F47
	v_add3_u32 v8, v71, v11, 1                                 // 0000000068E4: D1FF0008 02061747
	v_cndmask_b32_e64 v5, v8, v10, s[60:61]                    // 0000000068EC: D1000005 00F21508
	v_perm_b32 v99, v5, v4, s35                                // 0000000068F4: D1ED0063 008E0905
	v_cmp_u_f32_e64 s[60:61], v72, v72                         // 0000000068FC: D048003C 00029148
	v_add3_u32 v8, v72, v11, 1                                 // 000000006904: D1FF0008 02061748
	v_cndmask_b32_e64 v4, v8, v10, s[60:61]                    // 00000000690C: D1000004 00F21508
	v_cmp_u_f32_e64 s[60:61], v73, v73                         // 000000006914: D048003C 00029349
	v_add3_u32 v8, v73, v11, 1                                 // 00000000691C: D1FF0008 02061749
	v_cndmask_b32_e64 v5, v8, v10, s[60:61]                    // 000000006924: D1000005 00F21508
	v_perm_b32 v100, v5, v4, s35                               // 00000000692C: D1ED0064 008E0905
	v_cmp_u_f32_e64 s[60:61], v74, v74                         // 000000006934: D048003C 0002954A
	v_add3_u32 v8, v74, v11, 1                                 // 00000000693C: D1FF0008 0206174A
	v_cndmask_b32_e64 v4, v8, v10, s[60:61]                    // 000000006944: D1000004 00F21508
	v_cmp_u_f32_e64 s[60:61], v75, v75                         // 00000000694C: D048003C 0002974B
	v_add3_u32 v8, v75, v11, 1                                 // 000000006954: D1FF0008 0206174B
	v_cndmask_b32_e64 v5, v8, v10, s[60:61]                    // 00000000695C: D1000005 00F21508
	v_perm_b32 v101, v5, v4, s35                               // 000000006964: D1ED0065 008E0905
	v_cmp_u_f32_e64 s[60:61], v76, v76                         // 00000000696C: D048003C 0002994C
	v_add3_u32 v8, v76, v11, 1                                 // 000000006974: D1FF0008 0206174C
	v_cndmask_b32_e64 v4, v8, v10, s[60:61]                    // 00000000697C: D1000004 00F21508
	v_cmp_u_f32_e64 s[60:61], v77, v77                         // 000000006984: D048003C 00029B4D
	v_add3_u32 v8, v77, v11, 1                                 // 00000000698C: D1FF0008 0206174D
	v_cndmask_b32_e64 v5, v8, v10, s[60:61]                    // 000000006994: D1000005 00F21508
	v_perm_b32 v102, v5, v4, s35                               // 00000000699C: D1ED0066 008E0905
	v_cmp_u_f32_e64 s[60:61], v78, v78                         // 0000000069A4: D048003C 00029D4E
	v_add3_u32 v8, v78, v11, 1                                 // 0000000069AC: D1FF0008 0206174E
	v_cndmask_b32_e64 v4, v8, v10, s[60:61]                    // 0000000069B4: D1000004 00F21508
	v_cmp_u_f32_e64 s[60:61], v79, v79                         // 0000000069BC: D048003C 00029F4F
	v_add3_u32 v8, v79, v11, 1                                 // 0000000069C4: D1FF0008 0206174F
	v_cndmask_b32_e64 v5, v8, v10, s[60:61]                    // 0000000069CC: D1000005 00F21508
	v_perm_b32 v103, v5, v4, s35                               // 0000000069D4: D1ED0067 008E0905
	v_cmp_u_f32_e64 s[60:61], v80, v80                         // 0000000069DC: D048003C 0002A150
	v_add3_u32 v8, v80, v11, 1                                 // 0000000069E4: D1FF0008 02061750
	v_cndmask_b32_e64 v4, v8, v10, s[60:61]                    // 0000000069EC: D1000004 00F21508
	v_cmp_u_f32_e64 s[60:61], v81, v81                         // 0000000069F4: D048003C 0002A351
	v_add3_u32 v8, v81, v11, 1                                 // 0000000069FC: D1FF0008 02061751
	v_cndmask_b32_e64 v5, v8, v10, s[60:61]                    // 000000006A04: D1000005 00F21508
	v_perm_b32 v104, v5, v4, s35                               // 000000006A0C: D1ED0068 008E0905
	v_cmp_u_f32_e64 s[60:61], v82, v82                         // 000000006A14: D048003C 0002A552
	v_add3_u32 v8, v82, v11, 1                                 // 000000006A1C: D1FF0008 02061752
	v_cndmask_b32_e64 v4, v8, v10, s[60:61]                    // 000000006A24: D1000004 00F21508
	v_cmp_u_f32_e64 s[60:61], v83, v83                         // 000000006A2C: D048003C 0002A753
	v_add3_u32 v8, v83, v11, 1                                 // 000000006A34: D1FF0008 02061753
	v_cndmask_b32_e64 v5, v8, v10, s[60:61]                    // 000000006A3C: D1000005 00F21508
	v_perm_b32 v105, v5, v4, s35                               // 000000006A44: D1ED0069 008E0905
	v_cmp_u_f32_e64 s[60:61], v84, v84                         // 000000006A4C: D048003C 0002A954
	v_add3_u32 v8, v84, v11, 1                                 // 000000006A54: D1FF0008 02061754
	v_cndmask_b32_e64 v4, v8, v10, s[60:61]                    // 000000006A5C: D1000004 00F21508
	v_cmp_u_f32_e64 s[60:61], v85, v85                         // 000000006A64: D048003C 0002AB55
	v_add3_u32 v8, v85, v11, 1                                 // 000000006A6C: D1FF0008 02061755
	v_cndmask_b32_e64 v5, v8, v10, s[60:61]                    // 000000006A74: D1000005 00F21508
	v_perm_b32 v106, v5, v4, s35                               // 000000006A7C: D1ED006A 008E0905
	v_cmp_u_f32_e64 s[60:61], v86, v86                         // 000000006A84: D048003C 0002AD56
	v_add3_u32 v8, v86, v11, 1                                 // 000000006A8C: D1FF0008 02061756
	v_cndmask_b32_e64 v4, v8, v10, s[60:61]                    // 000000006A94: D1000004 00F21508
	v_cmp_u_f32_e64 s[60:61], v87, v87                         // 000000006A9C: D048003C 0002AF57
	v_add3_u32 v8, v87, v11, 1                                 // 000000006AA4: D1FF0008 02061757
	v_cndmask_b32_e64 v5, v8, v10, s[60:61]                    // 000000006AAC: D1000005 00F21508
	v_perm_b32 v107, v5, v4, s35                               // 000000006AB4: D1ED006B 008E0905
	ds_write_b64 v43, v[88:89]                                 // 000000006ABC: D89A0000 0000582B
	ds_write_b64 v43, v[90:91] offset:2176                     // 000000006AC4: D89A0880 00005A2B
	ds_write_b64 v43, v[92:93] offset:4352                     // 000000006ACC: D89A1100 00005C2B
	ds_write_b64 v43, v[94:95] offset:6528                     // 000000006AD4: D89A1980 00005E2B
	ds_write_b64 v43, v[96:97] offset:8704                     // 000000006ADC: D89A2200 0000602B
	ds_write_b64 v43, v[98:99] offset:10880                    // 000000006AE4: D89A2A80 0000622B
	ds_write_b64 v43, v[100:101] offset:13056                  // 000000006AEC: D89A3300 0000642B
	ds_write_b64 v43, v[102:103] offset:15232                  // 000000006AF4: D89A3B80 0000662B
	ds_write_b64 v43, v[104:105] offset:17408                  // 000000006AFC: D89A4400 0000682B
	ds_write_b64 v43, v[106:107] offset:19584                  // 000000006B04: D89A4C80 00006A2B
	s_waitcnt lgkmcnt(0)                                       // 000000006B0C: BF8CC07F
	s_barrier                                                  // 000000006B10: BF8A0000
	ds_read_b32 v88, v46                                       // 000000006B14: D86C0000 5800002E
	ds_read_b32 v89, v46 offset:64                             // 000000006B1C: D86C0040 5900002E
	ds_read_b32 v90, v46 offset:2176                           // 000000006B24: D86C0880 5A00002E
	ds_read_b32 v91, v46 offset:2240                           // 000000006B2C: D86C08C0 5B00002E
	ds_read_b32 v92, v46 offset:4352                           // 000000006B34: D86C1100 5C00002E
	ds_read_b32 v93, v46 offset:4416                           // 000000006B3C: D86C1140 5D00002E
	ds_read_b32 v94, v46 offset:6528                           // 000000006B44: D86C1980 5E00002E
	ds_read_b32 v95, v46 offset:6592                           // 000000006B4C: D86C19C0 5F00002E
	ds_read_b32 v96, v46 offset:8704                           // 000000006B54: D86C2200 6000002E
	ds_read_b32 v97, v46 offset:8768                           // 000000006B5C: D86C2240 6100002E
	ds_read_b32 v98, v46 offset:10880                          // 000000006B64: D86C2A80 6200002E
	ds_read_b32 v99, v46 offset:10944                          // 000000006B6C: D86C2AC0 6300002E
	ds_read_b32 v100, v46 offset:13056                         // 000000006B74: D86C3300 6400002E
	ds_read_b32 v101, v46 offset:13120                         // 000000006B7C: D86C3340 6500002E
	ds_read_b32 v102, v46 offset:15232                         // 000000006B84: D86C3B80 6600002E
	ds_read_b32 v103, v46 offset:15296                         // 000000006B8C: D86C3BC0 6700002E
	ds_read_b32 v104, v46 offset:17408                         // 000000006B94: D86C4400 6800002E
	ds_read_b32 v105, v46 offset:17472                         // 000000006B9C: D86C4440 6900002E
	ds_read_b32 v106, v46 offset:19584                         // 000000006BA4: D86C4C80 6A00002E
	ds_read_b32 v107, v46 offset:19648                         // 000000006BAC: D86C4CC0 6B00002E
	s_waitcnt lgkmcnt(0)                                       // 000000006BB4: BF8CC07F
	s_cmp_eq_u32 s24, 0                                        // 000000006BB8: BF068018
	s_cbranch_scc0 label_1076                                  // 000000006BBC: BF840006
	s_mov_b32 s31, 0                                           // 000000006BC0: BE9F0080

0000000000006bc4 <label_1071>:
	s_load_dword s32, s[40:41], s62 glc                        // 000000006BC4: C0010814 0000003E
	s_waitcnt lgkmcnt(0)                                       // 000000006BCC: BF8CC07F
	s_cmp_gt_u32 s32, s31                                      // 000000006BD0: BF081F20
	s_cbranch_scc0 label_1071                                  // 000000006BD4: BF84FFFB

0000000000006bd8 <label_1076>:
	s_barrier                                                  // 000000006BD8: BF8A0000
	s_mul_i32 s31, s30, 8                                      // 000000006BDC: 921F881E
	v_mov_b32_e32 v4, v22                                      // 000000006BE0: 7E080316
	global_atomic_pk_add_bf16 v4, v88, s[16:17]                // 000000006BE4: DD488000 00105804
	v_add_u32_e64 v4, v4, s31                                  // 000000006BEC: D1340004 00003F04
	global_atomic_pk_add_bf16 v4, v89, s[16:17]                // 000000006BF4: DD488000 00105904
	v_add_u32_e64 v4, v4, s31                                  // 000000006BFC: D1340004 00003F04
	global_atomic_pk_add_bf16 v4, v90, s[16:17]                // 000000006C04: DD488000 00105A04
	v_add_u32_e64 v4, v4, s31                                  // 000000006C0C: D1340004 00003F04
	global_atomic_pk_add_bf16 v4, v91, s[16:17]                // 000000006C14: DD488000 00105B04
	v_add_u32_e64 v4, v4, s31                                  // 000000006C1C: D1340004 00003F04
	global_atomic_pk_add_bf16 v4, v92, s[16:17]                // 000000006C24: DD488000 00105C04
	v_add_u32_e64 v4, v4, s31                                  // 000000006C2C: D1340004 00003F04
	global_atomic_pk_add_bf16 v4, v93, s[16:17]                // 000000006C34: DD488000 00105D04
	v_add_u32_e64 v4, v4, s31                                  // 000000006C3C: D1340004 00003F04
	global_atomic_pk_add_bf16 v4, v94, s[16:17]                // 000000006C44: DD488000 00105E04
	v_add_u32_e64 v4, v4, s31                                  // 000000006C4C: D1340004 00003F04
	global_atomic_pk_add_bf16 v4, v95, s[16:17]                // 000000006C54: DD488000 00105F04
	v_add_u32_e64 v4, v4, s31                                  // 000000006C5C: D1340004 00003F04
	global_atomic_pk_add_bf16 v4, v96, s[16:17]                // 000000006C64: DD488000 00106004
	v_add_u32_e64 v4, v4, s31                                  // 000000006C6C: D1340004 00003F04
	global_atomic_pk_add_bf16 v4, v97, s[16:17]                // 000000006C74: DD488000 00106104
	v_add_u32_e64 v4, v4, s31                                  // 000000006C7C: D1340004 00003F04
	global_atomic_pk_add_bf16 v4, v98, s[16:17]                // 000000006C84: DD488000 00106204
	v_add_u32_e64 v4, v4, s31                                  // 000000006C8C: D1340004 00003F04
	global_atomic_pk_add_bf16 v4, v99, s[16:17]                // 000000006C94: DD488000 00106304
	v_add_u32_e64 v4, v4, s31                                  // 000000006C9C: D1340004 00003F04
	global_atomic_pk_add_bf16 v4, v100, s[16:17]               // 000000006CA4: DD488000 00106404
	v_add_u32_e64 v4, v4, s31                                  // 000000006CAC: D1340004 00003F04
	global_atomic_pk_add_bf16 v4, v101, s[16:17]               // 000000006CB4: DD488000 00106504
	v_add_u32_e64 v4, v4, s31                                  // 000000006CBC: D1340004 00003F04
	global_atomic_pk_add_bf16 v4, v102, s[16:17]               // 000000006CC4: DD488000 00106604
	v_add_u32_e64 v4, v4, s31                                  // 000000006CCC: D1340004 00003F04
	global_atomic_pk_add_bf16 v4, v103, s[16:17]               // 000000006CD4: DD488000 00106704
	v_add_u32_e64 v4, v4, s31                                  // 000000006CDC: D1340004 00003F04
	global_atomic_pk_add_bf16 v4, v104, s[16:17]               // 000000006CE4: DD488000 00106804
	v_add_u32_e64 v4, v4, s31                                  // 000000006CEC: D1340004 00003F04
	global_atomic_pk_add_bf16 v4, v105, s[16:17]               // 000000006CF4: DD488000 00106904
	v_add_u32_e64 v4, v4, s31                                  // 000000006CFC: D1340004 00003F04
	global_atomic_pk_add_bf16 v4, v106, s[16:17]               // 000000006D04: DD488000 00106A04
	v_add_u32_e64 v4, v4, s31                                  // 000000006D0C: D1340004 00003F04
	global_atomic_pk_add_bf16 v4, v107, s[16:17]               // 000000006D14: DD488000 00106B04
	v_add_u32_e64 v4, v4, s31                                  // 000000006D1C: D1340004 00003F04
	s_barrier                                                  // 000000006D24: BF8A0000
	s_cmp_eq_u32 s24, 0                                        // 000000006D28: BF068018
	s_cbranch_scc0 label_16EB                                  // 000000006D2C: BF84061F
	s_atomic_dec s52, s[40:41], s62                            // 000000006D30: C2300D14 0000003E
	s_branch label_16EB                                        // 000000006D38: BF82061C

0000000000006d3c <label_10CF>:
	v_mov_b32_e32 v5, 0                                        // 000000006D3C: 7E0A0280
	s_and_b32 s17, s17, 0xffff                                 // 000000006D40: 8611FF11 0000FFFF
	s_cmp_lt_u32 s54, 1                                        // 000000006D48: BF0A8136
	s_cbranch_scc0 label_127F                                  // 000000006D4C: BF8401AB
	v_lshrrev_b32_e32 v4, 4, v0                                // 000000006D50: 20080084
	v_mul_u32_u24_e32 v43, 0x44, v4                            // 000000006D54: 105608FF 00000044
	v_and_b32_e32 v4, 15, v0                                   // 000000006D5C: 2608008F
	v_mul_lo_u32 v5, 4, v4                                     // 000000006D60: D2850005 00020884
	v_add_u32_e32 v43, v5, v43                                 // 000000006D68: 68565705
	s_mul_i32 s31, s24, 0x110                                  // 000000006D6C: 921FFF18 00000110
	v_add_u32_e32 v43, s31, v43                                // 000000006D74: 6856561F
	v_lshlrev_b32_e32 v43, 2, v43                              // 000000006D78: 24565682
	v_lshrrev_b32_e32 v4, 2, v0                                // 000000006D7C: 20080082
	v_mul_u32_u24_e32 v46, 0x44, v4                            // 000000006D80: 105C08FF 00000044
	v_and_b32_e32 v4, 3, v0                                    // 000000006D88: 26080083
	v_add_u32_e32 v46, v4, v46                                 // 000000006D8C: 685C5D04
	s_mul_i32 s31, s24, 4                                      // 000000006D90: 921F8418
	v_add_u32_e32 v46, s31, v46                                // 000000006D94: 685C5C1F
	v_lshlrev_b32_e32 v46, 2, v46                              // 000000006D98: 245C5C82
	s_lshr_b32 s31, s55, 2                                     // 000000006D9C: 8F1F8237
	s_and_b32 s32, s55, 3                                      // 000000006DA0: 86208337
	s_cmp_lt_u32 s24, s32                                      // 000000006DA4: BF0A2018
	s_cselect_b32 s32, 1, 0                                    // 000000006DA8: 85208081
	s_add_u32 s55, s31, s32                                    // 000000006DAC: 8037201F
	s_mov_b32 s33, 0                                           // 000000006DB0: BEA10080
	s_waitcnt vmcnt(0) expcnt(0) lgkmcnt(0)                    // 000000006DB4: BF8C0000
	s_barrier                                                  // 000000006DB8: BF8A0000
	ds_write_b128 v43, v[48:51]                                // 000000006DBC: D9BE0000 0000302B
	ds_write_b128 v43, v[52:55] offset:4352                    // 000000006DC4: D9BE1100 0000342B
	ds_write_b128 v43, v[56:59] offset:8704                    // 000000006DCC: D9BE2200 0000382B
	ds_write_b128 v43, v[60:63] offset:13056                   // 000000006DD4: D9BE3300 00003C2B
	ds_write_b128 v43, v[64:67] offset:17408                   // 000000006DDC: D9BE4400 0000402B
	ds_write_b128 v43, v[68:71] offset:21760                   // 000000006DE4: D9BE5500 0000442B
	ds_write_b128 v43, v[72:75] offset:26112                   // 000000006DEC: D9BE6600 0000482B
	ds_write_b128 v43, v[76:79] offset:30464                   // 000000006DF4: D9BE7700 00004C2B
	ds_write_b128 v43, v[80:83] offset:34816                   // 000000006DFC: D9BE8800 0000502B
	ds_write_b128 v43, v[84:87] offset:39168                   // 000000006E04: D9BE9900 0000542B
	s_waitcnt lgkmcnt(0)                                       // 000000006E0C: BF8CC07F
	s_barrier                                                  // 000000006E10: BF8A0000
	ds_read_b32 v48, v46                                       // 000000006E14: D86C0000 3000002E
	ds_read_b32 v49, v46 offset:64                             // 000000006E1C: D86C0040 3100002E
	ds_read_b32 v50, v46 offset:128                            // 000000006E24: D86C0080 3200002E
	ds_read_b32 v51, v46 offset:192                            // 000000006E2C: D86C00C0 3300002E
	ds_read_b32 v52, v46 offset:4352                           // 000000006E34: D86C1100 3400002E
	ds_read_b32 v53, v46 offset:4416                           // 000000006E3C: D86C1140 3500002E
	ds_read_b32 v54, v46 offset:4480                           // 000000006E44: D86C1180 3600002E
	ds_read_b32 v55, v46 offset:4544                           // 000000006E4C: D86C11C0 3700002E
	ds_read_b32 v56, v46 offset:8704                           // 000000006E54: D86C2200 3800002E
	ds_read_b32 v57, v46 offset:8768                           // 000000006E5C: D86C2240 3900002E
	ds_read_b32 v58, v46 offset:8832                           // 000000006E64: D86C2280 3A00002E
	ds_read_b32 v59, v46 offset:8896                           // 000000006E6C: D86C22C0 3B00002E
	ds_read_b32 v60, v46 offset:13056                          // 000000006E74: D86C3300 3C00002E
	ds_read_b32 v61, v46 offset:13120                          // 000000006E7C: D86C3340 3D00002E
	ds_read_b32 v62, v46 offset:13184                          // 000000006E84: D86C3380 3E00002E
	ds_read_b32 v63, v46 offset:13248                          // 000000006E8C: D86C33C0 3F00002E
	ds_read_b32 v64, v46 offset:17408                          // 000000006E94: D86C4400 4000002E
	ds_read_b32 v65, v46 offset:17472                          // 000000006E9C: D86C4440 4100002E
	ds_read_b32 v66, v46 offset:17536                          // 000000006EA4: D86C4480 4200002E
	ds_read_b32 v67, v46 offset:17600                          // 000000006EAC: D86C44C0 4300002E
	ds_read_b32 v68, v46 offset:21760                          // 000000006EB4: D86C5500 4400002E
	ds_read_b32 v69, v46 offset:21824                          // 000000006EBC: D86C5540 4500002E
	ds_read_b32 v70, v46 offset:21888                          // 000000006EC4: D86C5580 4600002E
	ds_read_b32 v71, v46 offset:21952                          // 000000006ECC: D86C55C0 4700002E
	ds_read_b32 v72, v46 offset:26112                          // 000000006ED4: D86C6600 4800002E
	ds_read_b32 v73, v46 offset:26176                          // 000000006EDC: D86C6640 4900002E
	ds_read_b32 v74, v46 offset:26240                          // 000000006EE4: D86C6680 4A00002E
	ds_read_b32 v75, v46 offset:26304                          // 000000006EEC: D86C66C0 4B00002E
	ds_read_b32 v76, v46 offset:30464                          // 000000006EF4: D86C7700 4C00002E
	ds_read_b32 v77, v46 offset:30528                          // 000000006EFC: D86C7740 4D00002E
	ds_read_b32 v78, v46 offset:30592                          // 000000006F04: D86C7780 4E00002E
	ds_read_b32 v79, v46 offset:30656                          // 000000006F0C: D86C77C0 4F00002E
	ds_read_b32 v80, v46 offset:34816                          // 000000006F14: D86C8800 5000002E
	ds_read_b32 v81, v46 offset:34880                          // 000000006F1C: D86C8840 5100002E
	ds_read_b32 v82, v46 offset:34944                          // 000000006F24: D86C8880 5200002E
	ds_read_b32 v83, v46 offset:35008                          // 000000006F2C: D86C88C0 5300002E
	ds_read_b32 v84, v46 offset:39168                          // 000000006F34: D86C9900 5400002E
	ds_read_b32 v85, v46 offset:39232                          // 000000006F3C: D86C9940 5500002E
	ds_read_b32 v86, v46 offset:39296                          // 000000006F44: D86C9980 5600002E
	ds_read_b32 v87, v46 offset:39360                          // 000000006F4C: D86C99C0 5700002E
	s_waitcnt lgkmcnt(0)                                       // 000000006F54: BF8CC07F
	s_cmp_eq_u32 s24, 0                                        // 000000006F58: BF068018
	s_cbranch_scc0 label_115E                                  // 000000006F5C: BF840006
	s_mov_b32 s31, 0                                           // 000000006F60: BE9F0080

0000000000006f64 <label_1159>:
	s_load_dword s32, s[40:41], s62 glc                        // 000000006F64: C0010814 0000003E
	s_waitcnt lgkmcnt(0)                                       // 000000006F6C: BF8CC07F
	s_cmp_gt_u32 s32, s31                                      // 000000006F70: BF081F20
	s_cbranch_scc0 label_1159                                  // 000000006F74: BF84FFFB

0000000000006f78 <label_115E>:
	s_barrier                                                  // 000000006F78: BF8A0000
	s_mul_i32 s31, s30, 4                                      // 000000006F7C: 921F841E
	v_mov_b32_e32 v4, v22                                      // 000000006F80: 7E080316
	s_cmp_lt_i32 s33, s55                                      // 000000006F84: BF043721
	s_cbranch_scc0 label_1279                                  // 000000006F88: BF840116
	global_atomic_add_f32 v4, v48, s[16:17]                    // 000000006F8C: DD348000 00103004
	v_add_u32_e64 v4, v4, s31                                  // 000000006F94: D1340004 00003F04
	s_addk_i32 s33, 0x1                                        // 000000006F9C: B7210001
	s_cmp_lt_i32 s33, s55                                      // 000000006FA0: BF043721
	s_cbranch_scc0 label_1279                                  // 000000006FA4: BF84010F
	global_atomic_add_f32 v4, v49, s[16:17]                    // 000000006FA8: DD348000 00103104
	v_add_u32_e64 v4, v4, s31                                  // 000000006FB0: D1340004 00003F04
	s_addk_i32 s33, 0x1                                        // 000000006FB8: B7210001
	s_cmp_lt_i32 s33, s55                                      // 000000006FBC: BF043721
	s_cbranch_scc0 label_1279                                  // 000000006FC0: BF840108
	global_atomic_add_f32 v4, v50, s[16:17]                    // 000000006FC4: DD348000 00103204
	v_add_u32_e64 v4, v4, s31                                  // 000000006FCC: D1340004 00003F04
	s_addk_i32 s33, 0x1                                        // 000000006FD4: B7210001
	s_cmp_lt_i32 s33, s55                                      // 000000006FD8: BF043721
	s_cbranch_scc0 label_1279                                  // 000000006FDC: BF840101
	global_atomic_add_f32 v4, v51, s[16:17]                    // 000000006FE0: DD348000 00103304
	v_add_u32_e64 v4, v4, s31                                  // 000000006FE8: D1340004 00003F04
	s_addk_i32 s33, 0x1                                        // 000000006FF0: B7210001
	s_cmp_lt_i32 s33, s55                                      // 000000006FF4: BF043721
	s_cbranch_scc0 label_1279                                  // 000000006FF8: BF8400FA
	global_atomic_add_f32 v4, v52, s[16:17]                    // 000000006FFC: DD348000 00103404
	v_add_u32_e64 v4, v4, s31                                  // 000000007004: D1340004 00003F04
	s_addk_i32 s33, 0x1                                        // 00000000700C: B7210001
	s_cmp_lt_i32 s33, s55                                      // 000000007010: BF043721
	s_cbranch_scc0 label_1279                                  // 000000007014: BF8400F3
	global_atomic_add_f32 v4, v53, s[16:17]                    // 000000007018: DD348000 00103504
	v_add_u32_e64 v4, v4, s31                                  // 000000007020: D1340004 00003F04
	s_addk_i32 s33, 0x1                                        // 000000007028: B7210001
	s_cmp_lt_i32 s33, s55                                      // 00000000702C: BF043721
	s_cbranch_scc0 label_1279                                  // 000000007030: BF8400EC
	global_atomic_add_f32 v4, v54, s[16:17]                    // 000000007034: DD348000 00103604
	v_add_u32_e64 v4, v4, s31                                  // 00000000703C: D1340004 00003F04
	s_addk_i32 s33, 0x1                                        // 000000007044: B7210001
	s_cmp_lt_i32 s33, s55                                      // 000000007048: BF043721
	s_cbranch_scc0 label_1279                                  // 00000000704C: BF8400E5
	global_atomic_add_f32 v4, v55, s[16:17]                    // 000000007050: DD348000 00103704
	v_add_u32_e64 v4, v4, s31                                  // 000000007058: D1340004 00003F04
	s_addk_i32 s33, 0x1                                        // 000000007060: B7210001
	s_cmp_lt_i32 s33, s55                                      // 000000007064: BF043721
	s_cbranch_scc0 label_1279                                  // 000000007068: BF8400DE
	global_atomic_add_f32 v4, v56, s[16:17]                    // 00000000706C: DD348000 00103804
	v_add_u32_e64 v4, v4, s31                                  // 000000007074: D1340004 00003F04
	s_addk_i32 s33, 0x1                                        // 00000000707C: B7210001
	s_cmp_lt_i32 s33, s55                                      // 000000007080: BF043721
	s_cbranch_scc0 label_1279                                  // 000000007084: BF8400D7
	global_atomic_add_f32 v4, v57, s[16:17]                    // 000000007088: DD348000 00103904
	v_add_u32_e64 v4, v4, s31                                  // 000000007090: D1340004 00003F04
	s_addk_i32 s33, 0x1                                        // 000000007098: B7210001
	s_cmp_lt_i32 s33, s55                                      // 00000000709C: BF043721
	s_cbranch_scc0 label_1279                                  // 0000000070A0: BF8400D0
	global_atomic_add_f32 v4, v58, s[16:17]                    // 0000000070A4: DD348000 00103A04
	v_add_u32_e64 v4, v4, s31                                  // 0000000070AC: D1340004 00003F04
	s_addk_i32 s33, 0x1                                        // 0000000070B4: B7210001
	s_cmp_lt_i32 s33, s55                                      // 0000000070B8: BF043721
	s_cbranch_scc0 label_1279                                  // 0000000070BC: BF8400C9
	global_atomic_add_f32 v4, v59, s[16:17]                    // 0000000070C0: DD348000 00103B04
	v_add_u32_e64 v4, v4, s31                                  // 0000000070C8: D1340004 00003F04
	s_addk_i32 s33, 0x1                                        // 0000000070D0: B7210001
	s_cmp_lt_i32 s33, s55                                      // 0000000070D4: BF043721
	s_cbranch_scc0 label_1279                                  // 0000000070D8: BF8400C2
	global_atomic_add_f32 v4, v60, s[16:17]                    // 0000000070DC: DD348000 00103C04
	v_add_u32_e64 v4, v4, s31                                  // 0000000070E4: D1340004 00003F04
	s_addk_i32 s33, 0x1                                        // 0000000070EC: B7210001
	s_cmp_lt_i32 s33, s55                                      // 0000000070F0: BF043721
	s_cbranch_scc0 label_1279                                  // 0000000070F4: BF8400BB
	global_atomic_add_f32 v4, v61, s[16:17]                    // 0000000070F8: DD348000 00103D04
	v_add_u32_e64 v4, v4, s31                                  // 000000007100: D1340004 00003F04
	s_addk_i32 s33, 0x1                                        // 000000007108: B7210001
	s_cmp_lt_i32 s33, s55                                      // 00000000710C: BF043721
	s_cbranch_scc0 label_1279                                  // 000000007110: BF8400B4
	global_atomic_add_f32 v4, v62, s[16:17]                    // 000000007114: DD348000 00103E04
	v_add_u32_e64 v4, v4, s31                                  // 00000000711C: D1340004 00003F04
	s_addk_i32 s33, 0x1                                        // 000000007124: B7210001
	s_cmp_lt_i32 s33, s55                                      // 000000007128: BF043721
	s_cbranch_scc0 label_1279                                  // 00000000712C: BF8400AD
	global_atomic_add_f32 v4, v63, s[16:17]                    // 000000007130: DD348000 00103F04
	v_add_u32_e64 v4, v4, s31                                  // 000000007138: D1340004 00003F04
	s_addk_i32 s33, 0x1                                        // 000000007140: B7210001
	s_cmp_lt_i32 s33, s55                                      // 000000007144: BF043721
	s_cbranch_scc0 label_1279                                  // 000000007148: BF8400A6
	global_atomic_add_f32 v4, v64, s[16:17]                    // 00000000714C: DD348000 00104004
	v_add_u32_e64 v4, v4, s31                                  // 000000007154: D1340004 00003F04
	s_addk_i32 s33, 0x1                                        // 00000000715C: B7210001
	s_cmp_lt_i32 s33, s55                                      // 000000007160: BF043721
	s_cbranch_scc0 label_1279                                  // 000000007164: BF84009F
	global_atomic_add_f32 v4, v65, s[16:17]                    // 000000007168: DD348000 00104104
	v_add_u32_e64 v4, v4, s31                                  // 000000007170: D1340004 00003F04
	s_addk_i32 s33, 0x1                                        // 000000007178: B7210001
	s_cmp_lt_i32 s33, s55                                      // 00000000717C: BF043721
	s_cbranch_scc0 label_1279                                  // 000000007180: BF840098
	global_atomic_add_f32 v4, v66, s[16:17]                    // 000000007184: DD348000 00104204
	v_add_u32_e64 v4, v4, s31                                  // 00000000718C: D1340004 00003F04
	s_addk_i32 s33, 0x1                                        // 000000007194: B7210001
	s_cmp_lt_i32 s33, s55                                      // 000000007198: BF043721
	s_cbranch_scc0 label_1279                                  // 00000000719C: BF840091
	global_atomic_add_f32 v4, v67, s[16:17]                    // 0000000071A0: DD348000 00104304
	v_add_u32_e64 v4, v4, s31                                  // 0000000071A8: D1340004 00003F04
	s_addk_i32 s33, 0x1                                        // 0000000071B0: B7210001
	s_cmp_lt_i32 s33, s55                                      // 0000000071B4: BF043721
	s_cbranch_scc0 label_1279                                  // 0000000071B8: BF84008A
	global_atomic_add_f32 v4, v68, s[16:17]                    // 0000000071BC: DD348000 00104404
	v_add_u32_e64 v4, v4, s31                                  // 0000000071C4: D1340004 00003F04
	s_addk_i32 s33, 0x1                                        // 0000000071CC: B7210001
	s_cmp_lt_i32 s33, s55                                      // 0000000071D0: BF043721
	s_cbranch_scc0 label_1279                                  // 0000000071D4: BF840083
	global_atomic_add_f32 v4, v69, s[16:17]                    // 0000000071D8: DD348000 00104504
	v_add_u32_e64 v4, v4, s31                                  // 0000000071E0: D1340004 00003F04
	s_addk_i32 s33, 0x1                                        // 0000000071E8: B7210001
	s_cmp_lt_i32 s33, s55                                      // 0000000071EC: BF043721
	s_cbranch_scc0 label_1279                                  // 0000000071F0: BF84007C
	global_atomic_add_f32 v4, v70, s[16:17]                    // 0000000071F4: DD348000 00104604
	v_add_u32_e64 v4, v4, s31                                  // 0000000071FC: D1340004 00003F04
	s_addk_i32 s33, 0x1                                        // 000000007204: B7210001
	s_cmp_lt_i32 s33, s55                                      // 000000007208: BF043721
	s_cbranch_scc0 label_1279                                  // 00000000720C: BF840075
	global_atomic_add_f32 v4, v71, s[16:17]                    // 000000007210: DD348000 00104704
	v_add_u32_e64 v4, v4, s31                                  // 000000007218: D1340004 00003F04
	s_addk_i32 s33, 0x1                                        // 000000007220: B7210001
	s_cmp_lt_i32 s33, s55                                      // 000000007224: BF043721
	s_cbranch_scc0 label_1279                                  // 000000007228: BF84006E
	global_atomic_add_f32 v4, v72, s[16:17]                    // 00000000722C: DD348000 00104804
	v_add_u32_e64 v4, v4, s31                                  // 000000007234: D1340004 00003F04
	s_addk_i32 s33, 0x1                                        // 00000000723C: B7210001
	s_cmp_lt_i32 s33, s55                                      // 000000007240: BF043721
	s_cbranch_scc0 label_1279                                  // 000000007244: BF840067
	global_atomic_add_f32 v4, v73, s[16:17]                    // 000000007248: DD348000 00104904
	v_add_u32_e64 v4, v4, s31                                  // 000000007250: D1340004 00003F04
	s_addk_i32 s33, 0x1                                        // 000000007258: B7210001
	s_cmp_lt_i32 s33, s55                                      // 00000000725C: BF043721
	s_cbranch_scc0 label_1279                                  // 000000007260: BF840060
	global_atomic_add_f32 v4, v74, s[16:17]                    // 000000007264: DD348000 00104A04
	v_add_u32_e64 v4, v4, s31                                  // 00000000726C: D1340004 00003F04
	s_addk_i32 s33, 0x1                                        // 000000007274: B7210001
	s_cmp_lt_i32 s33, s55                                      // 000000007278: BF043721
	s_cbranch_scc0 label_1279                                  // 00000000727C: BF840059
	global_atomic_add_f32 v4, v75, s[16:17]                    // 000000007280: DD348000 00104B04
	v_add_u32_e64 v4, v4, s31                                  // 000000007288: D1340004 00003F04
	s_addk_i32 s33, 0x1                                        // 000000007290: B7210001
	s_cmp_lt_i32 s33, s55                                      // 000000007294: BF043721
	s_cbranch_scc0 label_1279                                  // 000000007298: BF840052
	global_atomic_add_f32 v4, v76, s[16:17]                    // 00000000729C: DD348000 00104C04
	v_add_u32_e64 v4, v4, s31                                  // 0000000072A4: D1340004 00003F04
	s_addk_i32 s33, 0x1                                        // 0000000072AC: B7210001
	s_cmp_lt_i32 s33, s55                                      // 0000000072B0: BF043721
	s_cbranch_scc0 label_1279                                  // 0000000072B4: BF84004B
	global_atomic_add_f32 v4, v77, s[16:17]                    // 0000000072B8: DD348000 00104D04
	v_add_u32_e64 v4, v4, s31                                  // 0000000072C0: D1340004 00003F04
	s_addk_i32 s33, 0x1                                        // 0000000072C8: B7210001
	s_cmp_lt_i32 s33, s55                                      // 0000000072CC: BF043721
	s_cbranch_scc0 label_1279                                  // 0000000072D0: BF840044
	global_atomic_add_f32 v4, v78, s[16:17]                    // 0000000072D4: DD348000 00104E04
	v_add_u32_e64 v4, v4, s31                                  // 0000000072DC: D1340004 00003F04
	s_addk_i32 s33, 0x1                                        // 0000000072E4: B7210001
	s_cmp_lt_i32 s33, s55                                      // 0000000072E8: BF043721
	s_cbranch_scc0 label_1279                                  // 0000000072EC: BF84003D
	global_atomic_add_f32 v4, v79, s[16:17]                    // 0000000072F0: DD348000 00104F04
	v_add_u32_e64 v4, v4, s31                                  // 0000000072F8: D1340004 00003F04
	s_addk_i32 s33, 0x1                                        // 000000007300: B7210001
	s_cmp_lt_i32 s33, s55                                      // 000000007304: BF043721
	s_cbranch_scc0 label_1279                                  // 000000007308: BF840036
	global_atomic_add_f32 v4, v80, s[16:17]                    // 00000000730C: DD348000 00105004
	v_add_u32_e64 v4, v4, s31                                  // 000000007314: D1340004 00003F04
	s_addk_i32 s33, 0x1                                        // 00000000731C: B7210001
	s_cmp_lt_i32 s33, s55                                      // 000000007320: BF043721
	s_cbranch_scc0 label_1279                                  // 000000007324: BF84002F
	global_atomic_add_f32 v4, v81, s[16:17]                    // 000000007328: DD348000 00105104
	v_add_u32_e64 v4, v4, s31                                  // 000000007330: D1340004 00003F04
	s_addk_i32 s33, 0x1                                        // 000000007338: B7210001
	s_cmp_lt_i32 s33, s55                                      // 00000000733C: BF043721
	s_cbranch_scc0 label_1279                                  // 000000007340: BF840028
	global_atomic_add_f32 v4, v82, s[16:17]                    // 000000007344: DD348000 00105204
	v_add_u32_e64 v4, v4, s31                                  // 00000000734C: D1340004 00003F04
	s_addk_i32 s33, 0x1                                        // 000000007354: B7210001
	s_cmp_lt_i32 s33, s55                                      // 000000007358: BF043721
	s_cbranch_scc0 label_1279                                  // 00000000735C: BF840021
	global_atomic_add_f32 v4, v83, s[16:17]                    // 000000007360: DD348000 00105304
	v_add_u32_e64 v4, v4, s31                                  // 000000007368: D1340004 00003F04
	s_addk_i32 s33, 0x1                                        // 000000007370: B7210001
	s_cmp_lt_i32 s33, s55                                      // 000000007374: BF043721
	s_cbranch_scc0 label_1279                                  // 000000007378: BF84001A
	global_atomic_add_f32 v4, v84, s[16:17]                    // 00000000737C: DD348000 00105404
	v_add_u32_e64 v4, v4, s31                                  // 000000007384: D1340004 00003F04
	s_addk_i32 s33, 0x1                                        // 00000000738C: B7210001
	s_cmp_lt_i32 s33, s55                                      // 000000007390: BF043721
	s_cbranch_scc0 label_1279                                  // 000000007394: BF840013
	global_atomic_add_f32 v4, v85, s[16:17]                    // 000000007398: DD348000 00105504
	v_add_u32_e64 v4, v4, s31                                  // 0000000073A0: D1340004 00003F04
	s_addk_i32 s33, 0x1                                        // 0000000073A8: B7210001
	s_cmp_lt_i32 s33, s55                                      // 0000000073AC: BF043721
	s_cbranch_scc0 label_1279                                  // 0000000073B0: BF84000C
	global_atomic_add_f32 v4, v86, s[16:17]                    // 0000000073B4: DD348000 00105604
	v_add_u32_e64 v4, v4, s31                                  // 0000000073BC: D1340004 00003F04
	s_addk_i32 s33, 0x1                                        // 0000000073C4: B7210001
	s_cmp_lt_i32 s33, s55                                      // 0000000073C8: BF043721
	s_cbranch_scc0 label_1279                                  // 0000000073CC: BF840005
	global_atomic_add_f32 v4, v87, s[16:17]                    // 0000000073D0: DD348000 00105704
	v_add_u32_e64 v4, v4, s31                                  // 0000000073D8: D1340004 00003F04
	s_addk_i32 s33, 0x1                                        // 0000000073E0: B7210001

00000000000073e4 <label_1279>:
	s_barrier                                                  // 0000000073E4: BF8A0000
	s_cmp_eq_u32 s24, 0                                        // 0000000073E8: BF068018
	s_cbranch_scc0 label_16EB                                  // 0000000073EC: BF84046F
	s_atomic_dec s52, s[40:41], s62                            // 0000000073F0: C2300D14 0000003E
	s_branch label_16EB                                        // 0000000073F8: BF82046C

00000000000073fc <label_127F>:
	v_lshrrev_b32_e32 v4, 4, v0                                // 0000000073FC: 20080084
	v_mul_u32_u24_e32 v43, 34, v4                              // 000000007400: 105608A2
	v_and_b32_e32 v4, 15, v0                                   // 000000007404: 2608008F
	v_mul_lo_u32 v5, 2, v4                                     // 000000007408: D2850005 00020882
	v_add_u32_e32 v43, v5, v43                                 // 000000007410: 68565705
	s_mul_i32 s31, s24, 0x88                                   // 000000007414: 921FFF18 00000088
	v_add_u32_e32 v43, s31, v43                                // 00000000741C: 6856561F
	v_lshlrev_b32_e32 v43, 2, v43                              // 000000007420: 24565682
	v_and_b32_e32 v4, 31, v0                                   // 000000007424: 2608009F
	v_lshrrev_b32_e32 v5, 1, v4                                // 000000007428: 200A0881
	v_mul_u32_u24_e32 v46, 34, v5                              // 00000000742C: 105C0AA2
	v_and_b32_e32 v5, 1, v4                                    // 000000007430: 260A0881
	v_add_u32_e32 v46, v5, v46                                 // 000000007434: 685C5D05
	v_lshrrev_b32_e32 v4, 5, v0                                // 000000007438: 20080085
	v_mul_u32_u24_e32 v4, 8, v4                                // 00000000743C: 10080888
	v_add_u32_e32 v46, v4, v46                                 // 000000007440: 685C5D04
	s_mul_i32 s31, s24, 2                                      // 000000007444: 921F8218
	v_add_u32_e32 v46, s31, v46                                // 000000007448: 685C5C1F
	v_lshlrev_b32_e32 v46, 2, v46                              // 00000000744C: 245C5C82
	s_lshr_b32 s31, s55, 2                                     // 000000007450: 8F1F8237
	s_and_b32 s32, s55, 3                                      // 000000007454: 86208337
	s_cmp_lt_u32 s24, s32                                      // 000000007458: BF0A2018
	s_cselect_b32 s32, 1, 0                                    // 00000000745C: 85208081
	s_add_u32 s55, s31, s32                                    // 000000007460: 8037201F
	s_mov_b32 s33, 0                                           // 000000007464: BEA10080
	s_waitcnt vmcnt(0) expcnt(0) lgkmcnt(0)                    // 000000007468: BF8C0000
	s_barrier                                                  // 00000000746C: BF8A0000
	v_cmp_u_f32_e64 s[60:61], v48, v48                         // 000000007470: D048003C 00026130
	v_add3_u32 v8, v48, v11, 1                                 // 000000007478: D1FF0008 02061730
	v_cndmask_b32_e64 v4, v8, v10, s[60:61]                    // 000000007480: D1000004 00F21508
	v_cmp_u_f32_e64 s[60:61], v49, v49                         // 000000007488: D048003C 00026331
	v_add3_u32 v8, v49, v11, 1                                 // 000000007490: D1FF0008 02061731
	v_cndmask_b32_e64 v5, v8, v10, s[60:61]                    // 000000007498: D1000005 00F21508
	v_perm_b32 v88, v5, v4, s35                                // 0000000074A0: D1ED0058 008E0905
	v_cmp_u_f32_e64 s[60:61], v50, v50                         // 0000000074A8: D048003C 00026532
	v_add3_u32 v8, v50, v11, 1                                 // 0000000074B0: D1FF0008 02061732
	v_cndmask_b32_e64 v4, v8, v10, s[60:61]                    // 0000000074B8: D1000004 00F21508
	v_cmp_u_f32_e64 s[60:61], v51, v51                         // 0000000074C0: D048003C 00026733
	v_add3_u32 v8, v51, v11, 1                                 // 0000000074C8: D1FF0008 02061733
	v_cndmask_b32_e64 v5, v8, v10, s[60:61]                    // 0000000074D0: D1000005 00F21508
	v_perm_b32 v89, v5, v4, s35                                // 0000000074D8: D1ED0059 008E0905
	v_cmp_u_f32_e64 s[60:61], v52, v52                         // 0000000074E0: D048003C 00026934
	v_add3_u32 v8, v52, v11, 1                                 // 0000000074E8: D1FF0008 02061734
	v_cndmask_b32_e64 v4, v8, v10, s[60:61]                    // 0000000074F0: D1000004 00F21508
	v_cmp_u_f32_e64 s[60:61], v53, v53                         // 0000000074F8: D048003C 00026B35
	v_add3_u32 v8, v53, v11, 1                                 // 000000007500: D1FF0008 02061735
	v_cndmask_b32_e64 v5, v8, v10, s[60:61]                    // 000000007508: D1000005 00F21508
	v_perm_b32 v90, v5, v4, s35                                // 000000007510: D1ED005A 008E0905
	v_cmp_u_f32_e64 s[60:61], v54, v54                         // 000000007518: D048003C 00026D36
	v_add3_u32 v8, v54, v11, 1                                 // 000000007520: D1FF0008 02061736
	v_cndmask_b32_e64 v4, v8, v10, s[60:61]                    // 000000007528: D1000004 00F21508
	v_cmp_u_f32_e64 s[60:61], v55, v55                         // 000000007530: D048003C 00026F37
	v_add3_u32 v8, v55, v11, 1                                 // 000000007538: D1FF0008 02061737
	v_cndmask_b32_e64 v5, v8, v10, s[60:61]                    // 000000007540: D1000005 00F21508
	v_perm_b32 v91, v5, v4, s35                                // 000000007548: D1ED005B 008E0905
	v_cmp_u_f32_e64 s[60:61], v56, v56                         // 000000007550: D048003C 00027138
	v_add3_u32 v8, v56, v11, 1                                 // 000000007558: D1FF0008 02061738
	v_cndmask_b32_e64 v4, v8, v10, s[60:61]                    // 000000007560: D1000004 00F21508
	v_cmp_u_f32_e64 s[60:61], v57, v57                         // 000000007568: D048003C 00027339
	v_add3_u32 v8, v57, v11, 1                                 // 000000007570: D1FF0008 02061739
	v_cndmask_b32_e64 v5, v8, v10, s[60:61]                    // 000000007578: D1000005 00F21508
	v_perm_b32 v92, v5, v4, s35                                // 000000007580: D1ED005C 008E0905
	v_cmp_u_f32_e64 s[60:61], v58, v58                         // 000000007588: D048003C 0002753A
	v_add3_u32 v8, v58, v11, 1                                 // 000000007590: D1FF0008 0206173A
	v_cndmask_b32_e64 v4, v8, v10, s[60:61]                    // 000000007598: D1000004 00F21508
	v_cmp_u_f32_e64 s[60:61], v59, v59                         // 0000000075A0: D048003C 0002773B
	v_add3_u32 v8, v59, v11, 1                                 // 0000000075A8: D1FF0008 0206173B
	v_cndmask_b32_e64 v5, v8, v10, s[60:61]                    // 0000000075B0: D1000005 00F21508
	v_perm_b32 v93, v5, v4, s35                                // 0000000075B8: D1ED005D 008E0905
	v_cmp_u_f32_e64 s[60:61], v60, v60                         // 0000000075C0: D048003C 0002793C
	v_add3_u32 v8, v60, v11, 1                                 // 0000000075C8: D1FF0008 0206173C
	v_cndmask_b32_e64 v4, v8, v10, s[60:61]                    // 0000000075D0: D1000004 00F21508
	v_cmp_u_f32_e64 s[60:61], v61, v61                         // 0000000075D8: D048003C 00027B3D
	v_add3_u32 v8, v61, v11, 1                                 // 0000000075E0: D1FF0008 0206173D
	v_cndmask_b32_e64 v5, v8, v10, s[60:61]                    // 0000000075E8: D1000005 00F21508
	v_perm_b32 v94, v5, v4, s35                                // 0000000075F0: D1ED005E 008E0905
	v_cmp_u_f32_e64 s[60:61], v62, v62                         // 0000000075F8: D048003C 00027D3E
	v_add3_u32 v8, v62, v11, 1                                 // 000000007600: D1FF0008 0206173E
	v_cndmask_b32_e64 v4, v8, v10, s[60:61]                    // 000000007608: D1000004 00F21508
	v_cmp_u_f32_e64 s[60:61], v63, v63                         // 000000007610: D048003C 00027F3F
	v_add3_u32 v8, v63, v11, 1                                 // 000000007618: D1FF0008 0206173F
	v_cndmask_b32_e64 v5, v8, v10, s[60:61]                    // 000000007620: D1000005 00F21508
	v_perm_b32 v95, v5, v4, s35                                // 000000007628: D1ED005F 008E0905
	v_cmp_u_f32_e64 s[60:61], v64, v64                         // 000000007630: D048003C 00028140
	v_add3_u32 v8, v64, v11, 1                                 // 000000007638: D1FF0008 02061740
	v_cndmask_b32_e64 v4, v8, v10, s[60:61]                    // 000000007640: D1000004 00F21508
	v_cmp_u_f32_e64 s[60:61], v65, v65                         // 000000007648: D048003C 00028341
	v_add3_u32 v8, v65, v11, 1                                 // 000000007650: D1FF0008 02061741
	v_cndmask_b32_e64 v5, v8, v10, s[60:61]                    // 000000007658: D1000005 00F21508
	v_perm_b32 v96, v5, v4, s35                                // 000000007660: D1ED0060 008E0905
	v_cmp_u_f32_e64 s[60:61], v66, v66                         // 000000007668: D048003C 00028542
	v_add3_u32 v8, v66, v11, 1                                 // 000000007670: D1FF0008 02061742
	v_cndmask_b32_e64 v4, v8, v10, s[60:61]                    // 000000007678: D1000004 00F21508
	v_cmp_u_f32_e64 s[60:61], v67, v67                         // 000000007680: D048003C 00028743
	v_add3_u32 v8, v67, v11, 1                                 // 000000007688: D1FF0008 02061743
	v_cndmask_b32_e64 v5, v8, v10, s[60:61]                    // 000000007690: D1000005 00F21508
	v_perm_b32 v97, v5, v4, s35                                // 000000007698: D1ED0061 008E0905
	v_cmp_u_f32_e64 s[60:61], v68, v68                         // 0000000076A0: D048003C 00028944
	v_add3_u32 v8, v68, v11, 1                                 // 0000000076A8: D1FF0008 02061744
	v_cndmask_b32_e64 v4, v8, v10, s[60:61]                    // 0000000076B0: D1000004 00F21508
	v_cmp_u_f32_e64 s[60:61], v69, v69                         // 0000000076B8: D048003C 00028B45
	v_add3_u32 v8, v69, v11, 1                                 // 0000000076C0: D1FF0008 02061745
	v_cndmask_b32_e64 v5, v8, v10, s[60:61]                    // 0000000076C8: D1000005 00F21508
	v_perm_b32 v98, v5, v4, s35                                // 0000000076D0: D1ED0062 008E0905
	v_cmp_u_f32_e64 s[60:61], v70, v70                         // 0000000076D8: D048003C 00028D46
	v_add3_u32 v8, v70, v11, 1                                 // 0000000076E0: D1FF0008 02061746
	v_cndmask_b32_e64 v4, v8, v10, s[60:61]                    // 0000000076E8: D1000004 00F21508
	v_cmp_u_f32_e64 s[60:61], v71, v71                         // 0000000076F0: D048003C 00028F47
	v_add3_u32 v8, v71, v11, 1                                 // 0000000076F8: D1FF0008 02061747
	v_cndmask_b32_e64 v5, v8, v10, s[60:61]                    // 000000007700: D1000005 00F21508
	v_perm_b32 v99, v5, v4, s35                                // 000000007708: D1ED0063 008E0905
	v_cmp_u_f32_e64 s[60:61], v72, v72                         // 000000007710: D048003C 00029148
	v_add3_u32 v8, v72, v11, 1                                 // 000000007718: D1FF0008 02061748
	v_cndmask_b32_e64 v4, v8, v10, s[60:61]                    // 000000007720: D1000004 00F21508
	v_cmp_u_f32_e64 s[60:61], v73, v73                         // 000000007728: D048003C 00029349
	v_add3_u32 v8, v73, v11, 1                                 // 000000007730: D1FF0008 02061749
	v_cndmask_b32_e64 v5, v8, v10, s[60:61]                    // 000000007738: D1000005 00F21508
	v_perm_b32 v100, v5, v4, s35                               // 000000007740: D1ED0064 008E0905
	v_cmp_u_f32_e64 s[60:61], v74, v74                         // 000000007748: D048003C 0002954A
	v_add3_u32 v8, v74, v11, 1                                 // 000000007750: D1FF0008 0206174A
	v_cndmask_b32_e64 v4, v8, v10, s[60:61]                    // 000000007758: D1000004 00F21508
	v_cmp_u_f32_e64 s[60:61], v75, v75                         // 000000007760: D048003C 0002974B
	v_add3_u32 v8, v75, v11, 1                                 // 000000007768: D1FF0008 0206174B
	v_cndmask_b32_e64 v5, v8, v10, s[60:61]                    // 000000007770: D1000005 00F21508
	v_perm_b32 v101, v5, v4, s35                               // 000000007778: D1ED0065 008E0905
	v_cmp_u_f32_e64 s[60:61], v76, v76                         // 000000007780: D048003C 0002994C
	v_add3_u32 v8, v76, v11, 1                                 // 000000007788: D1FF0008 0206174C
	v_cndmask_b32_e64 v4, v8, v10, s[60:61]                    // 000000007790: D1000004 00F21508
	v_cmp_u_f32_e64 s[60:61], v77, v77                         // 000000007798: D048003C 00029B4D
	v_add3_u32 v8, v77, v11, 1                                 // 0000000077A0: D1FF0008 0206174D
	v_cndmask_b32_e64 v5, v8, v10, s[60:61]                    // 0000000077A8: D1000005 00F21508
	v_perm_b32 v102, v5, v4, s35                               // 0000000077B0: D1ED0066 008E0905
	v_cmp_u_f32_e64 s[60:61], v78, v78                         // 0000000077B8: D048003C 00029D4E
	v_add3_u32 v8, v78, v11, 1                                 // 0000000077C0: D1FF0008 0206174E
	v_cndmask_b32_e64 v4, v8, v10, s[60:61]                    // 0000000077C8: D1000004 00F21508
	v_cmp_u_f32_e64 s[60:61], v79, v79                         // 0000000077D0: D048003C 00029F4F
	v_add3_u32 v8, v79, v11, 1                                 // 0000000077D8: D1FF0008 0206174F
	v_cndmask_b32_e64 v5, v8, v10, s[60:61]                    // 0000000077E0: D1000005 00F21508
	v_perm_b32 v103, v5, v4, s35                               // 0000000077E8: D1ED0067 008E0905
	v_cmp_u_f32_e64 s[60:61], v80, v80                         // 0000000077F0: D048003C 0002A150
	v_add3_u32 v8, v80, v11, 1                                 // 0000000077F8: D1FF0008 02061750
	v_cndmask_b32_e64 v4, v8, v10, s[60:61]                    // 000000007800: D1000004 00F21508
	v_cmp_u_f32_e64 s[60:61], v81, v81                         // 000000007808: D048003C 0002A351
	v_add3_u32 v8, v81, v11, 1                                 // 000000007810: D1FF0008 02061751
	v_cndmask_b32_e64 v5, v8, v10, s[60:61]                    // 000000007818: D1000005 00F21508
	v_perm_b32 v104, v5, v4, s35                               // 000000007820: D1ED0068 008E0905
	v_cmp_u_f32_e64 s[60:61], v82, v82                         // 000000007828: D048003C 0002A552
	v_add3_u32 v8, v82, v11, 1                                 // 000000007830: D1FF0008 02061752
	v_cndmask_b32_e64 v4, v8, v10, s[60:61]                    // 000000007838: D1000004 00F21508
	v_cmp_u_f32_e64 s[60:61], v83, v83                         // 000000007840: D048003C 0002A753
	v_add3_u32 v8, v83, v11, 1                                 // 000000007848: D1FF0008 02061753
	v_cndmask_b32_e64 v5, v8, v10, s[60:61]                    // 000000007850: D1000005 00F21508
	v_perm_b32 v105, v5, v4, s35                               // 000000007858: D1ED0069 008E0905
	v_cmp_u_f32_e64 s[60:61], v84, v84                         // 000000007860: D048003C 0002A954
	v_add3_u32 v8, v84, v11, 1                                 // 000000007868: D1FF0008 02061754
	v_cndmask_b32_e64 v4, v8, v10, s[60:61]                    // 000000007870: D1000004 00F21508
	v_cmp_u_f32_e64 s[60:61], v85, v85                         // 000000007878: D048003C 0002AB55
	v_add3_u32 v8, v85, v11, 1                                 // 000000007880: D1FF0008 02061755
	v_cndmask_b32_e64 v5, v8, v10, s[60:61]                    // 000000007888: D1000005 00F21508
	v_perm_b32 v106, v5, v4, s35                               // 000000007890: D1ED006A 008E0905
	v_cmp_u_f32_e64 s[60:61], v86, v86                         // 000000007898: D048003C 0002AD56
	v_add3_u32 v8, v86, v11, 1                                 // 0000000078A0: D1FF0008 02061756
	v_cndmask_b32_e64 v4, v8, v10, s[60:61]                    // 0000000078A8: D1000004 00F21508
	v_cmp_u_f32_e64 s[60:61], v87, v87                         // 0000000078B0: D048003C 0002AF57
	v_add3_u32 v8, v87, v11, 1                                 // 0000000078B8: D1FF0008 02061757
	v_cndmask_b32_e64 v5, v8, v10, s[60:61]                    // 0000000078C0: D1000005 00F21508
	v_perm_b32 v107, v5, v4, s35                               // 0000000078C8: D1ED006B 008E0905
	ds_write_b64 v43, v[88:89]                                 // 0000000078D0: D89A0000 0000582B
	ds_write_b64 v43, v[90:91] offset:2176                     // 0000000078D8: D89A0880 00005A2B
	ds_write_b64 v43, v[92:93] offset:4352                     // 0000000078E0: D89A1100 00005C2B
	ds_write_b64 v43, v[94:95] offset:6528                     // 0000000078E8: D89A1980 00005E2B
	ds_write_b64 v43, v[96:97] offset:8704                     // 0000000078F0: D89A2200 0000602B
	ds_write_b64 v43, v[98:99] offset:10880                    // 0000000078F8: D89A2A80 0000622B
	ds_write_b64 v43, v[100:101] offset:13056                  // 000000007900: D89A3300 0000642B
	ds_write_b64 v43, v[102:103] offset:15232                  // 000000007908: D89A3B80 0000662B
	ds_write_b64 v43, v[104:105] offset:17408                  // 000000007910: D89A4400 0000682B
	ds_write_b64 v43, v[106:107] offset:19584                  // 000000007918: D89A4C80 00006A2B
	s_waitcnt lgkmcnt(0)                                       // 000000007920: BF8CC07F
	s_barrier                                                  // 000000007924: BF8A0000
	ds_read_b32 v88, v46                                       // 000000007928: D86C0000 5800002E
	ds_read_b32 v89, v46 offset:64                             // 000000007930: D86C0040 5900002E
	ds_read_b32 v90, v46 offset:2176                           // 000000007938: D86C0880 5A00002E
	ds_read_b32 v91, v46 offset:2240                           // 000000007940: D86C08C0 5B00002E
	ds_read_b32 v92, v46 offset:4352                           // 000000007948: D86C1100 5C00002E
	ds_read_b32 v93, v46 offset:4416                           // 000000007950: D86C1140 5D00002E
	ds_read_b32 v94, v46 offset:6528                           // 000000007958: D86C1980 5E00002E
	ds_read_b32 v95, v46 offset:6592                           // 000000007960: D86C19C0 5F00002E
	ds_read_b32 v96, v46 offset:8704                           // 000000007968: D86C2200 6000002E
	ds_read_b32 v97, v46 offset:8768                           // 000000007970: D86C2240 6100002E
	ds_read_b32 v98, v46 offset:10880                          // 000000007978: D86C2A80 6200002E
	ds_read_b32 v99, v46 offset:10944                          // 000000007980: D86C2AC0 6300002E
	ds_read_b32 v100, v46 offset:13056                         // 000000007988: D86C3300 6400002E
	ds_read_b32 v101, v46 offset:13120                         // 000000007990: D86C3340 6500002E
	ds_read_b32 v102, v46 offset:15232                         // 000000007998: D86C3B80 6600002E
	ds_read_b32 v103, v46 offset:15296                         // 0000000079A0: D86C3BC0 6700002E
	ds_read_b32 v104, v46 offset:17408                         // 0000000079A8: D86C4400 6800002E
	ds_read_b32 v105, v46 offset:17472                         // 0000000079B0: D86C4440 6900002E
	ds_read_b32 v106, v46 offset:19584                         // 0000000079B8: D86C4C80 6A00002E
	ds_read_b32 v107, v46 offset:19648                         // 0000000079C0: D86C4CC0 6B00002E
	s_waitcnt lgkmcnt(0)                                       // 0000000079C8: BF8CC07F
	s_cmp_eq_u32 s24, 0                                        // 0000000079CC: BF068018
	s_cbranch_scc0 label_13FB                                  // 0000000079D0: BF840006
	s_mov_b32 s31, 0                                           // 0000000079D4: BE9F0080

00000000000079d8 <label_13F6>:
	s_load_dword s32, s[40:41], s62 glc                        // 0000000079D8: C0010814 0000003E
	s_waitcnt lgkmcnt(0)                                       // 0000000079E0: BF8CC07F
	s_cmp_gt_u32 s32, s31                                      // 0000000079E4: BF081F20
	s_cbranch_scc0 label_13F6                                  // 0000000079E8: BF84FFFB

00000000000079ec <label_13FB>:
	s_barrier                                                  // 0000000079EC: BF8A0000
	s_mul_i32 s31, s30, 8                                      // 0000000079F0: 921F881E
	v_mov_b32_e32 v4, v22                                      // 0000000079F4: 7E080316
	s_cmp_lt_i32 s33, s55                                      // 0000000079F8: BF043721
	s_cbranch_scc0 label_15A2                                  // 0000000079FC: BF8401A2
	s_mov_b32 s58, -1                                          // 000000007A00: BEBA00C1
	s_mov_b32 s59, 0                                           // 000000007A04: BEBB0080
	s_mov_b64 exec, s[58:59]                                   // 000000007A08: BEFE013A
	global_atomic_pk_add_bf16 v4, v88, s[16:17]                // 000000007A0C: DD488000 00105804
	s_addk_i32 s33, 0x1                                        // 000000007A14: B7210001
	s_cmp_lt_i32 s33, s55                                      // 000000007A18: BF043721
	s_cbranch_scc0 label_15A2                                  // 000000007A1C: BF84019A
	s_mov_b32 s58, 0                                           // 000000007A20: BEBA0080
	s_mov_b32 s59, -1                                          // 000000007A24: BEBB00C1
	s_mov_b64 exec, s[58:59]                                   // 000000007A28: BEFE013A
	global_atomic_pk_add_bf16 v4, v88, s[16:17]                // 000000007A2C: DD488000 00105804
	s_addk_i32 s33, 0x1                                        // 000000007A34: B7210001
	s_mov_b32 s58, -1                                          // 000000007A38: BEBA00C1
	s_mov_b32 s59, -1                                          // 000000007A3C: BEBB00C1
	s_mov_b64 exec, s[58:59]                                   // 000000007A40: BEFE013A
	v_add_u32_e64 v4, v4, s31                                  // 000000007A44: D1340004 00003F04
	s_cmp_lt_i32 s33, s55                                      // 000000007A4C: BF043721
	s_cbranch_scc0 label_15A2                                  // 000000007A50: BF84018D
	s_mov_b32 s58, -1                                          // 000000007A54: BEBA00C1
	s_mov_b32 s59, 0                                           // 000000007A58: BEBB0080
	s_mov_b64 exec, s[58:59]                                   // 000000007A5C: BEFE013A
	global_atomic_pk_add_bf16 v4, v89, s[16:17]                // 000000007A60: DD488000 00105904
	s_addk_i32 s33, 0x1                                        // 000000007A68: B7210001
	s_cmp_lt_i32 s33, s55                                      // 000000007A6C: BF043721
	s_cbranch_scc0 label_15A2                                  // 000000007A70: BF840185
	s_mov_b32 s58, 0                                           // 000000007A74: BEBA0080
	s_mov_b32 s59, -1                                          // 000000007A78: BEBB00C1
	s_mov_b64 exec, s[58:59]                                   // 000000007A7C: BEFE013A
	global_atomic_pk_add_bf16 v4, v89, s[16:17]                // 000000007A80: DD488000 00105904
	s_addk_i32 s33, 0x1                                        // 000000007A88: B7210001
	s_mov_b32 s58, -1                                          // 000000007A8C: BEBA00C1
	s_mov_b32 s59, -1                                          // 000000007A90: BEBB00C1
	s_mov_b64 exec, s[58:59]                                   // 000000007A94: BEFE013A
	v_add_u32_e64 v4, v4, s31                                  // 000000007A98: D1340004 00003F04
	s_cmp_lt_i32 s33, s55                                      // 000000007AA0: BF043721
	s_cbranch_scc0 label_15A2                                  // 000000007AA4: BF840178
	s_mov_b32 s58, -1                                          // 000000007AA8: BEBA00C1
	s_mov_b32 s59, 0                                           // 000000007AAC: BEBB0080
	s_mov_b64 exec, s[58:59]                                   // 000000007AB0: BEFE013A
	global_atomic_pk_add_bf16 v4, v90, s[16:17]                // 000000007AB4: DD488000 00105A04
	s_addk_i32 s33, 0x1                                        // 000000007ABC: B7210001
	s_cmp_lt_i32 s33, s55                                      // 000000007AC0: BF043721
	s_cbranch_scc0 label_15A2                                  // 000000007AC4: BF840170
	s_mov_b32 s58, 0                                           // 000000007AC8: BEBA0080
	s_mov_b32 s59, -1                                          // 000000007ACC: BEBB00C1
	s_mov_b64 exec, s[58:59]                                   // 000000007AD0: BEFE013A
	global_atomic_pk_add_bf16 v4, v90, s[16:17]                // 000000007AD4: DD488000 00105A04
	s_addk_i32 s33, 0x1                                        // 000000007ADC: B7210001
	s_mov_b32 s58, -1                                          // 000000007AE0: BEBA00C1
	s_mov_b32 s59, -1                                          // 000000007AE4: BEBB00C1
	s_mov_b64 exec, s[58:59]                                   // 000000007AE8: BEFE013A
	v_add_u32_e64 v4, v4, s31                                  // 000000007AEC: D1340004 00003F04
	s_cmp_lt_i32 s33, s55                                      // 000000007AF4: BF043721
	s_cbranch_scc0 label_15A2                                  // 000000007AF8: BF840163
	s_mov_b32 s58, -1                                          // 000000007AFC: BEBA00C1
	s_mov_b32 s59, 0                                           // 000000007B00: BEBB0080
	s_mov_b64 exec, s[58:59]                                   // 000000007B04: BEFE013A
	global_atomic_pk_add_bf16 v4, v91, s[16:17]                // 000000007B08: DD488000 00105B04
	s_addk_i32 s33, 0x1                                        // 000000007B10: B7210001
	s_cmp_lt_i32 s33, s55                                      // 000000007B14: BF043721
	s_cbranch_scc0 label_15A2                                  // 000000007B18: BF84015B
	s_mov_b32 s58, 0                                           // 000000007B1C: BEBA0080
	s_mov_b32 s59, -1                                          // 000000007B20: BEBB00C1
	s_mov_b64 exec, s[58:59]                                   // 000000007B24: BEFE013A
	global_atomic_pk_add_bf16 v4, v91, s[16:17]                // 000000007B28: DD488000 00105B04
	s_addk_i32 s33, 0x1                                        // 000000007B30: B7210001
	s_mov_b32 s58, -1                                          // 000000007B34: BEBA00C1
	s_mov_b32 s59, -1                                          // 000000007B38: BEBB00C1
	s_mov_b64 exec, s[58:59]                                   // 000000007B3C: BEFE013A
	v_add_u32_e64 v4, v4, s31                                  // 000000007B40: D1340004 00003F04
	s_cmp_lt_i32 s33, s55                                      // 000000007B48: BF043721
	s_cbranch_scc0 label_15A2                                  // 000000007B4C: BF84014E
	s_mov_b32 s58, -1                                          // 000000007B50: BEBA00C1
	s_mov_b32 s59, 0                                           // 000000007B54: BEBB0080
	s_mov_b64 exec, s[58:59]                                   // 000000007B58: BEFE013A
	global_atomic_pk_add_bf16 v4, v92, s[16:17]                // 000000007B5C: DD488000 00105C04
	s_addk_i32 s33, 0x1                                        // 000000007B64: B7210001
	s_cmp_lt_i32 s33, s55                                      // 000000007B68: BF043721
	s_cbranch_scc0 label_15A2                                  // 000000007B6C: BF840146
	s_mov_b32 s58, 0                                           // 000000007B70: BEBA0080
	s_mov_b32 s59, -1                                          // 000000007B74: BEBB00C1
	s_mov_b64 exec, s[58:59]                                   // 000000007B78: BEFE013A
	global_atomic_pk_add_bf16 v4, v92, s[16:17]                // 000000007B7C: DD488000 00105C04
	s_addk_i32 s33, 0x1                                        // 000000007B84: B7210001
	s_mov_b32 s58, -1                                          // 000000007B88: BEBA00C1
	s_mov_b32 s59, -1                                          // 000000007B8C: BEBB00C1
	s_mov_b64 exec, s[58:59]                                   // 000000007B90: BEFE013A
	v_add_u32_e64 v4, v4, s31                                  // 000000007B94: D1340004 00003F04
	s_cmp_lt_i32 s33, s55                                      // 000000007B9C: BF043721
	s_cbranch_scc0 label_15A2                                  // 000000007BA0: BF840139
	s_mov_b32 s58, -1                                          // 000000007BA4: BEBA00C1
	s_mov_b32 s59, 0                                           // 000000007BA8: BEBB0080
	s_mov_b64 exec, s[58:59]                                   // 000000007BAC: BEFE013A
	global_atomic_pk_add_bf16 v4, v93, s[16:17]                // 000000007BB0: DD488000 00105D04
	s_addk_i32 s33, 0x1                                        // 000000007BB8: B7210001
	s_cmp_lt_i32 s33, s55                                      // 000000007BBC: BF043721
	s_cbranch_scc0 label_15A2                                  // 000000007BC0: BF840131
	s_mov_b32 s58, 0                                           // 000000007BC4: BEBA0080
	s_mov_b32 s59, -1                                          // 000000007BC8: BEBB00C1
	s_mov_b64 exec, s[58:59]                                   // 000000007BCC: BEFE013A
	global_atomic_pk_add_bf16 v4, v93, s[16:17]                // 000000007BD0: DD488000 00105D04
	s_addk_i32 s33, 0x1                                        // 000000007BD8: B7210001
	s_mov_b32 s58, -1                                          // 000000007BDC: BEBA00C1
	s_mov_b32 s59, -1                                          // 000000007BE0: BEBB00C1
	s_mov_b64 exec, s[58:59]                                   // 000000007BE4: BEFE013A
	v_add_u32_e64 v4, v4, s31                                  // 000000007BE8: D1340004 00003F04
	s_cmp_lt_i32 s33, s55                                      // 000000007BF0: BF043721
	s_cbranch_scc0 label_15A2                                  // 000000007BF4: BF840124
	s_mov_b32 s58, -1                                          // 000000007BF8: BEBA00C1
	s_mov_b32 s59, 0                                           // 000000007BFC: BEBB0080
	s_mov_b64 exec, s[58:59]                                   // 000000007C00: BEFE013A
	global_atomic_pk_add_bf16 v4, v94, s[16:17]                // 000000007C04: DD488000 00105E04
	s_addk_i32 s33, 0x1                                        // 000000007C0C: B7210001
	s_cmp_lt_i32 s33, s55                                      // 000000007C10: BF043721
	s_cbranch_scc0 label_15A2                                  // 000000007C14: BF84011C
	s_mov_b32 s58, 0                                           // 000000007C18: BEBA0080
	s_mov_b32 s59, -1                                          // 000000007C1C: BEBB00C1
	s_mov_b64 exec, s[58:59]                                   // 000000007C20: BEFE013A
	global_atomic_pk_add_bf16 v4, v94, s[16:17]                // 000000007C24: DD488000 00105E04
	s_addk_i32 s33, 0x1                                        // 000000007C2C: B7210001
	s_mov_b32 s58, -1                                          // 000000007C30: BEBA00C1
	s_mov_b32 s59, -1                                          // 000000007C34: BEBB00C1
	s_mov_b64 exec, s[58:59]                                   // 000000007C38: BEFE013A
	v_add_u32_e64 v4, v4, s31                                  // 000000007C3C: D1340004 00003F04
	s_cmp_lt_i32 s33, s55                                      // 000000007C44: BF043721
	s_cbranch_scc0 label_15A2                                  // 000000007C48: BF84010F
	s_mov_b32 s58, -1                                          // 000000007C4C: BEBA00C1
	s_mov_b32 s59, 0                                           // 000000007C50: BEBB0080
	s_mov_b64 exec, s[58:59]                                   // 000000007C54: BEFE013A
	global_atomic_pk_add_bf16 v4, v95, s[16:17]                // 000000007C58: DD488000 00105F04
	s_addk_i32 s33, 0x1                                        // 000000007C60: B7210001
	s_cmp_lt_i32 s33, s55                                      // 000000007C64: BF043721
	s_cbranch_scc0 label_15A2                                  // 000000007C68: BF840107
	s_mov_b32 s58, 0                                           // 000000007C6C: BEBA0080
	s_mov_b32 s59, -1                                          // 000000007C70: BEBB00C1
	s_mov_b64 exec, s[58:59]                                   // 000000007C74: BEFE013A
	global_atomic_pk_add_bf16 v4, v95, s[16:17]                // 000000007C78: DD488000 00105F04
	s_addk_i32 s33, 0x1                                        // 000000007C80: B7210001
	s_mov_b32 s58, -1                                          // 000000007C84: BEBA00C1
	s_mov_b32 s59, -1                                          // 000000007C88: BEBB00C1
	s_mov_b64 exec, s[58:59]                                   // 000000007C8C: BEFE013A
	v_add_u32_e64 v4, v4, s31                                  // 000000007C90: D1340004 00003F04
	s_cmp_lt_i32 s33, s55                                      // 000000007C98: BF043721
	s_cbranch_scc0 label_15A2                                  // 000000007C9C: BF8400FA
	s_mov_b32 s58, -1                                          // 000000007CA0: BEBA00C1
	s_mov_b32 s59, 0                                           // 000000007CA4: BEBB0080
	s_mov_b64 exec, s[58:59]                                   // 000000007CA8: BEFE013A
	global_atomic_pk_add_bf16 v4, v96, s[16:17]                // 000000007CAC: DD488000 00106004
	s_addk_i32 s33, 0x1                                        // 000000007CB4: B7210001
	s_cmp_lt_i32 s33, s55                                      // 000000007CB8: BF043721
	s_cbranch_scc0 label_15A2                                  // 000000007CBC: BF8400F2
	s_mov_b32 s58, 0                                           // 000000007CC0: BEBA0080
	s_mov_b32 s59, -1                                          // 000000007CC4: BEBB00C1
	s_mov_b64 exec, s[58:59]                                   // 000000007CC8: BEFE013A
	global_atomic_pk_add_bf16 v4, v96, s[16:17]                // 000000007CCC: DD488000 00106004
	s_addk_i32 s33, 0x1                                        // 000000007CD4: B7210001
	s_mov_b32 s58, -1                                          // 000000007CD8: BEBA00C1
	s_mov_b32 s59, -1                                          // 000000007CDC: BEBB00C1
	s_mov_b64 exec, s[58:59]                                   // 000000007CE0: BEFE013A
	v_add_u32_e64 v4, v4, s31                                  // 000000007CE4: D1340004 00003F04
	s_cmp_lt_i32 s33, s55                                      // 000000007CEC: BF043721
	s_cbranch_scc0 label_15A2                                  // 000000007CF0: BF8400E5
	s_mov_b32 s58, -1                                          // 000000007CF4: BEBA00C1
	s_mov_b32 s59, 0                                           // 000000007CF8: BEBB0080
	s_mov_b64 exec, s[58:59]                                   // 000000007CFC: BEFE013A
	global_atomic_pk_add_bf16 v4, v97, s[16:17]                // 000000007D00: DD488000 00106104
	s_addk_i32 s33, 0x1                                        // 000000007D08: B7210001
	s_cmp_lt_i32 s33, s55                                      // 000000007D0C: BF043721
	s_cbranch_scc0 label_15A2                                  // 000000007D10: BF8400DD
	s_mov_b32 s58, 0                                           // 000000007D14: BEBA0080
	s_mov_b32 s59, -1                                          // 000000007D18: BEBB00C1
	s_mov_b64 exec, s[58:59]                                   // 000000007D1C: BEFE013A
	global_atomic_pk_add_bf16 v4, v97, s[16:17]                // 000000007D20: DD488000 00106104
	s_addk_i32 s33, 0x1                                        // 000000007D28: B7210001
	s_mov_b32 s58, -1                                          // 000000007D2C: BEBA00C1
	s_mov_b32 s59, -1                                          // 000000007D30: BEBB00C1
	s_mov_b64 exec, s[58:59]                                   // 000000007D34: BEFE013A
	v_add_u32_e64 v4, v4, s31                                  // 000000007D38: D1340004 00003F04
	s_cmp_lt_i32 s33, s55                                      // 000000007D40: BF043721
	s_cbranch_scc0 label_15A2                                  // 000000007D44: BF8400D0
	s_mov_b32 s58, -1                                          // 000000007D48: BEBA00C1
	s_mov_b32 s59, 0                                           // 000000007D4C: BEBB0080
	s_mov_b64 exec, s[58:59]                                   // 000000007D50: BEFE013A
	global_atomic_pk_add_bf16 v4, v98, s[16:17]                // 000000007D54: DD488000 00106204
	s_addk_i32 s33, 0x1                                        // 000000007D5C: B7210001
	s_cmp_lt_i32 s33, s55                                      // 000000007D60: BF043721
	s_cbranch_scc0 label_15A2                                  // 000000007D64: BF8400C8
	s_mov_b32 s58, 0                                           // 000000007D68: BEBA0080
	s_mov_b32 s59, -1                                          // 000000007D6C: BEBB00C1
	s_mov_b64 exec, s[58:59]                                   // 000000007D70: BEFE013A
	global_atomic_pk_add_bf16 v4, v98, s[16:17]                // 000000007D74: DD488000 00106204
	s_addk_i32 s33, 0x1                                        // 000000007D7C: B7210001
	s_mov_b32 s58, -1                                          // 000000007D80: BEBA00C1
	s_mov_b32 s59, -1                                          // 000000007D84: BEBB00C1
	s_mov_b64 exec, s[58:59]                                   // 000000007D88: BEFE013A
	v_add_u32_e64 v4, v4, s31                                  // 000000007D8C: D1340004 00003F04
	s_cmp_lt_i32 s33, s55                                      // 000000007D94: BF043721
	s_cbranch_scc0 label_15A2                                  // 000000007D98: BF8400BB
	s_mov_b32 s58, -1                                          // 000000007D9C: BEBA00C1
	s_mov_b32 s59, 0                                           // 000000007DA0: BEBB0080
	s_mov_b64 exec, s[58:59]                                   // 000000007DA4: BEFE013A
	global_atomic_pk_add_bf16 v4, v99, s[16:17]                // 000000007DA8: DD488000 00106304
	s_addk_i32 s33, 0x1                                        // 000000007DB0: B7210001
	s_cmp_lt_i32 s33, s55                                      // 000000007DB4: BF043721
	s_cbranch_scc0 label_15A2                                  // 000000007DB8: BF8400B3
	s_mov_b32 s58, 0                                           // 000000007DBC: BEBA0080
	s_mov_b32 s59, -1                                          // 000000007DC0: BEBB00C1
	s_mov_b64 exec, s[58:59]                                   // 000000007DC4: BEFE013A
	global_atomic_pk_add_bf16 v4, v99, s[16:17]                // 000000007DC8: DD488000 00106304
	s_addk_i32 s33, 0x1                                        // 000000007DD0: B7210001
	s_mov_b32 s58, -1                                          // 000000007DD4: BEBA00C1
	s_mov_b32 s59, -1                                          // 000000007DD8: BEBB00C1
	s_mov_b64 exec, s[58:59]                                   // 000000007DDC: BEFE013A
	v_add_u32_e64 v4, v4, s31                                  // 000000007DE0: D1340004 00003F04
	s_cmp_lt_i32 s33, s55                                      // 000000007DE8: BF043721
	s_cbranch_scc0 label_15A2                                  // 000000007DEC: BF8400A6
	s_mov_b32 s58, -1                                          // 000000007DF0: BEBA00C1
	s_mov_b32 s59, 0                                           // 000000007DF4: BEBB0080
	s_mov_b64 exec, s[58:59]                                   // 000000007DF8: BEFE013A
	global_atomic_pk_add_bf16 v4, v100, s[16:17]               // 000000007DFC: DD488000 00106404
	s_addk_i32 s33, 0x1                                        // 000000007E04: B7210001
	s_cmp_lt_i32 s33, s55                                      // 000000007E08: BF043721
	s_cbranch_scc0 label_15A2                                  // 000000007E0C: BF84009E
	s_mov_b32 s58, 0                                           // 000000007E10: BEBA0080
	s_mov_b32 s59, -1                                          // 000000007E14: BEBB00C1
	s_mov_b64 exec, s[58:59]                                   // 000000007E18: BEFE013A
	global_atomic_pk_add_bf16 v4, v100, s[16:17]               // 000000007E1C: DD488000 00106404
	s_addk_i32 s33, 0x1                                        // 000000007E24: B7210001
	s_mov_b32 s58, -1                                          // 000000007E28: BEBA00C1
	s_mov_b32 s59, -1                                          // 000000007E2C: BEBB00C1
	s_mov_b64 exec, s[58:59]                                   // 000000007E30: BEFE013A
	v_add_u32_e64 v4, v4, s31                                  // 000000007E34: D1340004 00003F04
	s_cmp_lt_i32 s33, s55                                      // 000000007E3C: BF043721
	s_cbranch_scc0 label_15A2                                  // 000000007E40: BF840091
	s_mov_b32 s58, -1                                          // 000000007E44: BEBA00C1
	s_mov_b32 s59, 0                                           // 000000007E48: BEBB0080
	s_mov_b64 exec, s[58:59]                                   // 000000007E4C: BEFE013A
	global_atomic_pk_add_bf16 v4, v101, s[16:17]               // 000000007E50: DD488000 00106504
	s_addk_i32 s33, 0x1                                        // 000000007E58: B7210001
	s_cmp_lt_i32 s33, s55                                      // 000000007E5C: BF043721
	s_cbranch_scc0 label_15A2                                  // 000000007E60: BF840089
	s_mov_b32 s58, 0                                           // 000000007E64: BEBA0080
	s_mov_b32 s59, -1                                          // 000000007E68: BEBB00C1
	s_mov_b64 exec, s[58:59]                                   // 000000007E6C: BEFE013A
	global_atomic_pk_add_bf16 v4, v101, s[16:17]               // 000000007E70: DD488000 00106504
	s_addk_i32 s33, 0x1                                        // 000000007E78: B7210001
	s_mov_b32 s58, -1                                          // 000000007E7C: BEBA00C1
	s_mov_b32 s59, -1                                          // 000000007E80: BEBB00C1
	s_mov_b64 exec, s[58:59]                                   // 000000007E84: BEFE013A
	v_add_u32_e64 v4, v4, s31                                  // 000000007E88: D1340004 00003F04
	s_cmp_lt_i32 s33, s55                                      // 000000007E90: BF043721
	s_cbranch_scc0 label_15A2                                  // 000000007E94: BF84007C
	s_mov_b32 s58, -1                                          // 000000007E98: BEBA00C1
	s_mov_b32 s59, 0                                           // 000000007E9C: BEBB0080
	s_mov_b64 exec, s[58:59]                                   // 000000007EA0: BEFE013A
	global_atomic_pk_add_bf16 v4, v102, s[16:17]               // 000000007EA4: DD488000 00106604
	s_addk_i32 s33, 0x1                                        // 000000007EAC: B7210001
	s_cmp_lt_i32 s33, s55                                      // 000000007EB0: BF043721
	s_cbranch_scc0 label_15A2                                  // 000000007EB4: BF840074
	s_mov_b32 s58, 0                                           // 000000007EB8: BEBA0080
	s_mov_b32 s59, -1                                          // 000000007EBC: BEBB00C1
	s_mov_b64 exec, s[58:59]                                   // 000000007EC0: BEFE013A
	global_atomic_pk_add_bf16 v4, v102, s[16:17]               // 000000007EC4: DD488000 00106604
	s_addk_i32 s33, 0x1                                        // 000000007ECC: B7210001
	s_mov_b32 s58, -1                                          // 000000007ED0: BEBA00C1
	s_mov_b32 s59, -1                                          // 000000007ED4: BEBB00C1
	s_mov_b64 exec, s[58:59]                                   // 000000007ED8: BEFE013A
	v_add_u32_e64 v4, v4, s31                                  // 000000007EDC: D1340004 00003F04
	s_cmp_lt_i32 s33, s55                                      // 000000007EE4: BF043721
	s_cbranch_scc0 label_15A2                                  // 000000007EE8: BF840067
	s_mov_b32 s58, -1                                          // 000000007EEC: BEBA00C1
	s_mov_b32 s59, 0                                           // 000000007EF0: BEBB0080
	s_mov_b64 exec, s[58:59]                                   // 000000007EF4: BEFE013A
	global_atomic_pk_add_bf16 v4, v103, s[16:17]               // 000000007EF8: DD488000 00106704
	s_addk_i32 s33, 0x1                                        // 000000007F00: B7210001
	s_cmp_lt_i32 s33, s55                                      // 000000007F04: BF043721
	s_cbranch_scc0 label_15A2                                  // 000000007F08: BF84005F
	s_mov_b32 s58, 0                                           // 000000007F0C: BEBA0080
	s_mov_b32 s59, -1                                          // 000000007F10: BEBB00C1
	s_mov_b64 exec, s[58:59]                                   // 000000007F14: BEFE013A
	global_atomic_pk_add_bf16 v4, v103, s[16:17]               // 000000007F18: DD488000 00106704
	s_addk_i32 s33, 0x1                                        // 000000007F20: B7210001
	s_mov_b32 s58, -1                                          // 000000007F24: BEBA00C1
	s_mov_b32 s59, -1                                          // 000000007F28: BEBB00C1
	s_mov_b64 exec, s[58:59]                                   // 000000007F2C: BEFE013A
	v_add_u32_e64 v4, v4, s31                                  // 000000007F30: D1340004 00003F04
	s_cmp_lt_i32 s33, s55                                      // 000000007F38: BF043721
	s_cbranch_scc0 label_15A2                                  // 000000007F3C: BF840052
	s_mov_b32 s58, -1                                          // 000000007F40: BEBA00C1
	s_mov_b32 s59, 0                                           // 000000007F44: BEBB0080
	s_mov_b64 exec, s[58:59]                                   // 000000007F48: BEFE013A
	global_atomic_pk_add_bf16 v4, v104, s[16:17]               // 000000007F4C: DD488000 00106804
	s_addk_i32 s33, 0x1                                        // 000000007F54: B7210001
	s_cmp_lt_i32 s33, s55                                      // 000000007F58: BF043721
	s_cbranch_scc0 label_15A2                                  // 000000007F5C: BF84004A
	s_mov_b32 s58, 0                                           // 000000007F60: BEBA0080
	s_mov_b32 s59, -1                                          // 000000007F64: BEBB00C1
	s_mov_b64 exec, s[58:59]                                   // 000000007F68: BEFE013A
	global_atomic_pk_add_bf16 v4, v104, s[16:17]               // 000000007F6C: DD488000 00106804
	s_addk_i32 s33, 0x1                                        // 000000007F74: B7210001
	s_mov_b32 s58, -1                                          // 000000007F78: BEBA00C1
	s_mov_b32 s59, -1                                          // 000000007F7C: BEBB00C1
	s_mov_b64 exec, s[58:59]                                   // 000000007F80: BEFE013A
	v_add_u32_e64 v4, v4, s31                                  // 000000007F84: D1340004 00003F04
	s_cmp_lt_i32 s33, s55                                      // 000000007F8C: BF043721
	s_cbranch_scc0 label_15A2                                  // 000000007F90: BF84003D
	s_mov_b32 s58, -1                                          // 000000007F94: BEBA00C1
	s_mov_b32 s59, 0                                           // 000000007F98: BEBB0080
	s_mov_b64 exec, s[58:59]                                   // 000000007F9C: BEFE013A
	global_atomic_pk_add_bf16 v4, v105, s[16:17]               // 000000007FA0: DD488000 00106904
	s_addk_i32 s33, 0x1                                        // 000000007FA8: B7210001
	s_cmp_lt_i32 s33, s55                                      // 000000007FAC: BF043721
	s_cbranch_scc0 label_15A2                                  // 000000007FB0: BF840035
	s_mov_b32 s58, 0                                           // 000000007FB4: BEBA0080
	s_mov_b32 s59, -1                                          // 000000007FB8: BEBB00C1
	s_mov_b64 exec, s[58:59]                                   // 000000007FBC: BEFE013A
	global_atomic_pk_add_bf16 v4, v105, s[16:17]               // 000000007FC0: DD488000 00106904
	s_addk_i32 s33, 0x1                                        // 000000007FC8: B7210001
	s_mov_b32 s58, -1                                          // 000000007FCC: BEBA00C1
	s_mov_b32 s59, -1                                          // 000000007FD0: BEBB00C1
	s_mov_b64 exec, s[58:59]                                   // 000000007FD4: BEFE013A
	v_add_u32_e64 v4, v4, s31                                  // 000000007FD8: D1340004 00003F04
	s_cmp_lt_i32 s33, s55                                      // 000000007FE0: BF043721
	s_cbranch_scc0 label_15A2                                  // 000000007FE4: BF840028
	s_mov_b32 s58, -1                                          // 000000007FE8: BEBA00C1
	s_mov_b32 s59, 0                                           // 000000007FEC: BEBB0080
	s_mov_b64 exec, s[58:59]                                   // 000000007FF0: BEFE013A
	global_atomic_pk_add_bf16 v4, v106, s[16:17]               // 000000007FF4: DD488000 00106A04
	s_addk_i32 s33, 0x1                                        // 000000007FFC: B7210001
	s_cmp_lt_i32 s33, s55                                      // 000000008000: BF043721
	s_cbranch_scc0 label_15A2                                  // 000000008004: BF840020
	s_mov_b32 s58, 0                                           // 000000008008: BEBA0080
	s_mov_b32 s59, -1                                          // 00000000800C: BEBB00C1
	s_mov_b64 exec, s[58:59]                                   // 000000008010: BEFE013A
	global_atomic_pk_add_bf16 v4, v106, s[16:17]               // 000000008014: DD488000 00106A04
	s_addk_i32 s33, 0x1                                        // 00000000801C: B7210001
	s_mov_b32 s58, -1                                          // 000000008020: BEBA00C1
	s_mov_b32 s59, -1                                          // 000000008024: BEBB00C1
	s_mov_b64 exec, s[58:59]                                   // 000000008028: BEFE013A
	v_add_u32_e64 v4, v4, s31                                  // 00000000802C: D1340004 00003F04
	s_cmp_lt_i32 s33, s55                                      // 000000008034: BF043721
	s_cbranch_scc0 label_15A2                                  // 000000008038: BF840013
	s_mov_b32 s58, -1                                          // 00000000803C: BEBA00C1
	s_mov_b32 s59, 0                                           // 000000008040: BEBB0080
	s_mov_b64 exec, s[58:59]                                   // 000000008044: BEFE013A
	global_atomic_pk_add_bf16 v4, v107, s[16:17]               // 000000008048: DD488000 00106B04
	s_addk_i32 s33, 0x1                                        // 000000008050: B7210001
	s_cmp_lt_i32 s33, s55                                      // 000000008054: BF043721
	s_cbranch_scc0 label_15A2                                  // 000000008058: BF84000B
	s_mov_b32 s58, 0                                           // 00000000805C: BEBA0080
	s_mov_b32 s59, -1                                          // 000000008060: BEBB00C1
	s_mov_b64 exec, s[58:59]                                   // 000000008064: BEFE013A
	global_atomic_pk_add_bf16 v4, v107, s[16:17]               // 000000008068: DD488000 00106B04
	s_addk_i32 s33, 0x1                                        // 000000008070: B7210001
	s_mov_b32 s58, -1                                          // 000000008074: BEBA00C1
	s_mov_b32 s59, -1                                          // 000000008078: BEBB00C1
	s_mov_b64 exec, s[58:59]                                   // 00000000807C: BEFE013A
	v_add_u32_e64 v4, v4, s31                                  // 000000008080: D1340004 00003F04

0000000000008088 <label_15A2>:
	s_barrier                                                  // 000000008088: BF8A0000
	s_cmp_eq_u32 s24, 0                                        // 00000000808C: BF068018
	s_cbranch_scc0 label_16EB                                  // 000000008090: BF840146
	s_atomic_dec s52, s[40:41], s62                            // 000000008094: C2300D14 0000003E
	s_branch label_16EB                                        // 00000000809C: BF820143

00000000000080a0 <label_15A8>:
	s_cmp_lt_u32 s54, 1                                        // 0000000080A0: BF0A8136
	s_cbranch_scc0 label_15BF                                  // 0000000080A4: BF840015
	buffer_store_dwordx4 v[48:51], v12, s[16:19], 0 offen      // 0000000080A8: E07C1000 8004300C
	buffer_store_dwordx4 v[52:55], v13, s[16:19], 0 offen      // 0000000080B0: E07C1000 8004340D
	buffer_store_dwordx4 v[56:59], v14, s[16:19], 0 offen      // 0000000080B8: E07C1000 8004380E
	buffer_store_dwordx4 v[60:63], v15, s[16:19], 0 offen      // 0000000080C0: E07C1000 80043C0F
	buffer_store_dwordx4 v[64:67], v16, s[16:19], 0 offen      // 0000000080C8: E07C1000 80044010
	buffer_store_dwordx4 v[68:71], v17, s[16:19], 0 offen      // 0000000080D0: E07C1000 80044411
	buffer_store_dwordx4 v[72:75], v18, s[16:19], 0 offen      // 0000000080D8: E07C1000 80044812
	buffer_store_dwordx4 v[76:79], v19, s[16:19], 0 offen      // 0000000080E0: E07C1000 80044C13
	buffer_store_dwordx4 v[80:83], v20, s[16:19], 0 offen      // 0000000080E8: E07C1000 80045014
	buffer_store_dwordx4 v[84:87], v21, s[16:19], 0 offen      // 0000000080F0: E07C1000 80045415
	s_branch label_16EB                                        // 0000000080F8: BF82012C

00000000000080fc <label_15BF>:
	v_cmp_u_f32_e64 s[60:61], v48, v48                         // 0000000080FC: D048003C 00026130
	v_add3_u32 v8, v48, v11, 1                                 // 000000008104: D1FF0008 02061730
	v_cndmask_b32_e64 v4, v8, v10, s[60:61]                    // 00000000810C: D1000004 00F21508
	v_cmp_u_f32_e64 s[60:61], v49, v49                         // 000000008114: D048003C 00026331
	v_add3_u32 v8, v49, v11, 1                                 // 00000000811C: D1FF0008 02061731
	v_cndmask_b32_e64 v5, v8, v10, s[60:61]                    // 000000008124: D1000005 00F21508
	v_perm_b32 v88, v5, v4, s35                                // 00000000812C: D1ED0058 008E0905
	v_cmp_u_f32_e64 s[60:61], v50, v50                         // 000000008134: D048003C 00026532
	v_add3_u32 v8, v50, v11, 1                                 // 00000000813C: D1FF0008 02061732
	v_cndmask_b32_e64 v4, v8, v10, s[60:61]                    // 000000008144: D1000004 00F21508
	v_cmp_u_f32_e64 s[60:61], v51, v51                         // 00000000814C: D048003C 00026733
	v_add3_u32 v8, v51, v11, 1                                 // 000000008154: D1FF0008 02061733
	v_cndmask_b32_e64 v5, v8, v10, s[60:61]                    // 00000000815C: D1000005 00F21508
	v_perm_b32 v89, v5, v4, s35                                // 000000008164: D1ED0059 008E0905
	buffer_store_dwordx2 v[88:89], v12, s[16:19], 0 offen      // 00000000816C: E0741000 8004580C
	v_cmp_u_f32_e64 s[60:61], v52, v52                         // 000000008174: D048003C 00026934
	v_add3_u32 v8, v52, v11, 1                                 // 00000000817C: D1FF0008 02061734
	v_cndmask_b32_e64 v4, v8, v10, s[60:61]                    // 000000008184: D1000004 00F21508
	v_cmp_u_f32_e64 s[60:61], v53, v53                         // 00000000818C: D048003C 00026B35
	v_add3_u32 v8, v53, v11, 1                                 // 000000008194: D1FF0008 02061735
	v_cndmask_b32_e64 v5, v8, v10, s[60:61]                    // 00000000819C: D1000005 00F21508
	v_perm_b32 v90, v5, v4, s35                                // 0000000081A4: D1ED005A 008E0905
	v_cmp_u_f32_e64 s[60:61], v54, v54                         // 0000000081AC: D048003C 00026D36
	v_add3_u32 v8, v54, v11, 1                                 // 0000000081B4: D1FF0008 02061736
	v_cndmask_b32_e64 v4, v8, v10, s[60:61]                    // 0000000081BC: D1000004 00F21508
	v_cmp_u_f32_e64 s[60:61], v55, v55                         // 0000000081C4: D048003C 00026F37
	v_add3_u32 v8, v55, v11, 1                                 // 0000000081CC: D1FF0008 02061737
	v_cndmask_b32_e64 v5, v8, v10, s[60:61]                    // 0000000081D4: D1000005 00F21508
	v_perm_b32 v91, v5, v4, s35                                // 0000000081DC: D1ED005B 008E0905
	buffer_store_dwordx2 v[90:91], v13, s[16:19], 0 offen      // 0000000081E4: E0741000 80045A0D
	v_cmp_u_f32_e64 s[60:61], v56, v56                         // 0000000081EC: D048003C 00027138
	v_add3_u32 v8, v56, v11, 1                                 // 0000000081F4: D1FF0008 02061738
	v_cndmask_b32_e64 v4, v8, v10, s[60:61]                    // 0000000081FC: D1000004 00F21508
	v_cmp_u_f32_e64 s[60:61], v57, v57                         // 000000008204: D048003C 00027339
	v_add3_u32 v8, v57, v11, 1                                 // 00000000820C: D1FF0008 02061739
	v_cndmask_b32_e64 v5, v8, v10, s[60:61]                    // 000000008214: D1000005 00F21508
	v_perm_b32 v92, v5, v4, s35                                // 00000000821C: D1ED005C 008E0905
	v_cmp_u_f32_e64 s[60:61], v58, v58                         // 000000008224: D048003C 0002753A
	v_add3_u32 v8, v58, v11, 1                                 // 00000000822C: D1FF0008 0206173A
	v_cndmask_b32_e64 v4, v8, v10, s[60:61]                    // 000000008234: D1000004 00F21508
	v_cmp_u_f32_e64 s[60:61], v59, v59                         // 00000000823C: D048003C 0002773B
	v_add3_u32 v8, v59, v11, 1                                 // 000000008244: D1FF0008 0206173B
	v_cndmask_b32_e64 v5, v8, v10, s[60:61]                    // 00000000824C: D1000005 00F21508
	v_perm_b32 v93, v5, v4, s35                                // 000000008254: D1ED005D 008E0905
	buffer_store_dwordx2 v[92:93], v14, s[16:19], 0 offen      // 00000000825C: E0741000 80045C0E
	v_cmp_u_f32_e64 s[60:61], v60, v60                         // 000000008264: D048003C 0002793C
	v_add3_u32 v8, v60, v11, 1                                 // 00000000826C: D1FF0008 0206173C
	v_cndmask_b32_e64 v4, v8, v10, s[60:61]                    // 000000008274: D1000004 00F21508
	v_cmp_u_f32_e64 s[60:61], v61, v61                         // 00000000827C: D048003C 00027B3D
	v_add3_u32 v8, v61, v11, 1                                 // 000000008284: D1FF0008 0206173D
	v_cndmask_b32_e64 v5, v8, v10, s[60:61]                    // 00000000828C: D1000005 00F21508
	v_perm_b32 v94, v5, v4, s35                                // 000000008294: D1ED005E 008E0905
	v_cmp_u_f32_e64 s[60:61], v62, v62                         // 00000000829C: D048003C 00027D3E
	v_add3_u32 v8, v62, v11, 1                                 // 0000000082A4: D1FF0008 0206173E
	v_cndmask_b32_e64 v4, v8, v10, s[60:61]                    // 0000000082AC: D1000004 00F21508
	v_cmp_u_f32_e64 s[60:61], v63, v63                         // 0000000082B4: D048003C 00027F3F
	v_add3_u32 v8, v63, v11, 1                                 // 0000000082BC: D1FF0008 0206173F
	v_cndmask_b32_e64 v5, v8, v10, s[60:61]                    // 0000000082C4: D1000005 00F21508
	v_perm_b32 v95, v5, v4, s35                                // 0000000082CC: D1ED005F 008E0905
	buffer_store_dwordx2 v[94:95], v15, s[16:19], 0 offen      // 0000000082D4: E0741000 80045E0F
	v_cmp_u_f32_e64 s[60:61], v64, v64                         // 0000000082DC: D048003C 00028140
	v_add3_u32 v8, v64, v11, 1                                 // 0000000082E4: D1FF0008 02061740
	v_cndmask_b32_e64 v4, v8, v10, s[60:61]                    // 0000000082EC: D1000004 00F21508
	v_cmp_u_f32_e64 s[60:61], v65, v65                         // 0000000082F4: D048003C 00028341
	v_add3_u32 v8, v65, v11, 1                                 // 0000000082FC: D1FF0008 02061741
	v_cndmask_b32_e64 v5, v8, v10, s[60:61]                    // 000000008304: D1000005 00F21508
	v_perm_b32 v96, v5, v4, s35                                // 00000000830C: D1ED0060 008E0905
	v_cmp_u_f32_e64 s[60:61], v66, v66                         // 000000008314: D048003C 00028542
	v_add3_u32 v8, v66, v11, 1                                 // 00000000831C: D1FF0008 02061742
	v_cndmask_b32_e64 v4, v8, v10, s[60:61]                    // 000000008324: D1000004 00F21508
	v_cmp_u_f32_e64 s[60:61], v67, v67                         // 00000000832C: D048003C 00028743
	v_add3_u32 v8, v67, v11, 1                                 // 000000008334: D1FF0008 02061743
	v_cndmask_b32_e64 v5, v8, v10, s[60:61]                    // 00000000833C: D1000005 00F21508
	v_perm_b32 v97, v5, v4, s35                                // 000000008344: D1ED0061 008E0905
	buffer_store_dwordx2 v[96:97], v16, s[16:19], 0 offen      // 00000000834C: E0741000 80046010
	v_cmp_u_f32_e64 s[60:61], v68, v68                         // 000000008354: D048003C 00028944
	v_add3_u32 v8, v68, v11, 1                                 // 00000000835C: D1FF0008 02061744
	v_cndmask_b32_e64 v4, v8, v10, s[60:61]                    // 000000008364: D1000004 00F21508
	v_cmp_u_f32_e64 s[60:61], v69, v69                         // 00000000836C: D048003C 00028B45
	v_add3_u32 v8, v69, v11, 1                                 // 000000008374: D1FF0008 02061745
	v_cndmask_b32_e64 v5, v8, v10, s[60:61]                    // 00000000837C: D1000005 00F21508
	v_perm_b32 v98, v5, v4, s35                                // 000000008384: D1ED0062 008E0905
	v_cmp_u_f32_e64 s[60:61], v70, v70                         // 00000000838C: D048003C 00028D46
	v_add3_u32 v8, v70, v11, 1                                 // 000000008394: D1FF0008 02061746
	v_cndmask_b32_e64 v4, v8, v10, s[60:61]                    // 00000000839C: D1000004 00F21508
	v_cmp_u_f32_e64 s[60:61], v71, v71                         // 0000000083A4: D048003C 00028F47
	v_add3_u32 v8, v71, v11, 1                                 // 0000000083AC: D1FF0008 02061747
	v_cndmask_b32_e64 v5, v8, v10, s[60:61]                    // 0000000083B4: D1000005 00F21508
	v_perm_b32 v99, v5, v4, s35                                // 0000000083BC: D1ED0063 008E0905
	buffer_store_dwordx2 v[98:99], v17, s[16:19], 0 offen      // 0000000083C4: E0741000 80046211
	v_cmp_u_f32_e64 s[60:61], v72, v72                         // 0000000083CC: D048003C 00029148
	v_add3_u32 v8, v72, v11, 1                                 // 0000000083D4: D1FF0008 02061748
	v_cndmask_b32_e64 v4, v8, v10, s[60:61]                    // 0000000083DC: D1000004 00F21508
	v_cmp_u_f32_e64 s[60:61], v73, v73                         // 0000000083E4: D048003C 00029349
	v_add3_u32 v8, v73, v11, 1                                 // 0000000083EC: D1FF0008 02061749
	v_cndmask_b32_e64 v5, v8, v10, s[60:61]                    // 0000000083F4: D1000005 00F21508
	v_perm_b32 v100, v5, v4, s35                               // 0000000083FC: D1ED0064 008E0905
	v_cmp_u_f32_e64 s[60:61], v74, v74                         // 000000008404: D048003C 0002954A
	v_add3_u32 v8, v74, v11, 1                                 // 00000000840C: D1FF0008 0206174A
	v_cndmask_b32_e64 v4, v8, v10, s[60:61]                    // 000000008414: D1000004 00F21508
	v_cmp_u_f32_e64 s[60:61], v75, v75                         // 00000000841C: D048003C 0002974B
	v_add3_u32 v8, v75, v11, 1                                 // 000000008424: D1FF0008 0206174B
	v_cndmask_b32_e64 v5, v8, v10, s[60:61]                    // 00000000842C: D1000005 00F21508
	v_perm_b32 v101, v5, v4, s35                               // 000000008434: D1ED0065 008E0905
	buffer_store_dwordx2 v[100:101], v18, s[16:19], 0 offen    // 00000000843C: E0741000 80046412
	v_cmp_u_f32_e64 s[60:61], v76, v76                         // 000000008444: D048003C 0002994C
	v_add3_u32 v8, v76, v11, 1                                 // 00000000844C: D1FF0008 0206174C
	v_cndmask_b32_e64 v4, v8, v10, s[60:61]                    // 000000008454: D1000004 00F21508
	v_cmp_u_f32_e64 s[60:61], v77, v77                         // 00000000845C: D048003C 00029B4D
	v_add3_u32 v8, v77, v11, 1                                 // 000000008464: D1FF0008 0206174D
	v_cndmask_b32_e64 v5, v8, v10, s[60:61]                    // 00000000846C: D1000005 00F21508
	v_perm_b32 v102, v5, v4, s35                               // 000000008474: D1ED0066 008E0905
	v_cmp_u_f32_e64 s[60:61], v78, v78                         // 00000000847C: D048003C 00029D4E
	v_add3_u32 v8, v78, v11, 1                                 // 000000008484: D1FF0008 0206174E
	v_cndmask_b32_e64 v4, v8, v10, s[60:61]                    // 00000000848C: D1000004 00F21508
	v_cmp_u_f32_e64 s[60:61], v79, v79                         // 000000008494: D048003C 00029F4F
	v_add3_u32 v8, v79, v11, 1                                 // 00000000849C: D1FF0008 0206174F
	v_cndmask_b32_e64 v5, v8, v10, s[60:61]                    // 0000000084A4: D1000005 00F21508
	v_perm_b32 v103, v5, v4, s35                               // 0000000084AC: D1ED0067 008E0905
	buffer_store_dwordx2 v[102:103], v19, s[16:19], 0 offen    // 0000000084B4: E0741000 80046613
	v_cmp_u_f32_e64 s[60:61], v80, v80                         // 0000000084BC: D048003C 0002A150
	v_add3_u32 v8, v80, v11, 1                                 // 0000000084C4: D1FF0008 02061750
	v_cndmask_b32_e64 v4, v8, v10, s[60:61]                    // 0000000084CC: D1000004 00F21508
	v_cmp_u_f32_e64 s[60:61], v81, v81                         // 0000000084D4: D048003C 0002A351
	v_add3_u32 v8, v81, v11, 1                                 // 0000000084DC: D1FF0008 02061751
	v_cndmask_b32_e64 v5, v8, v10, s[60:61]                    // 0000000084E4: D1000005 00F21508
	v_perm_b32 v104, v5, v4, s35                               // 0000000084EC: D1ED0068 008E0905
	v_cmp_u_f32_e64 s[60:61], v82, v82                         // 0000000084F4: D048003C 0002A552
	v_add3_u32 v8, v82, v11, 1                                 // 0000000084FC: D1FF0008 02061752
	v_cndmask_b32_e64 v4, v8, v10, s[60:61]                    // 000000008504: D1000004 00F21508
	v_cmp_u_f32_e64 s[60:61], v83, v83                         // 00000000850C: D048003C 0002A753
	v_add3_u32 v8, v83, v11, 1                                 // 000000008514: D1FF0008 02061753
	v_cndmask_b32_e64 v5, v8, v10, s[60:61]                    // 00000000851C: D1000005 00F21508
	v_perm_b32 v105, v5, v4, s35                               // 000000008524: D1ED0069 008E0905
	buffer_store_dwordx2 v[104:105], v20, s[16:19], 0 offen    // 00000000852C: E0741000 80046814
	v_cmp_u_f32_e64 s[60:61], v84, v84                         // 000000008534: D048003C 0002A954
	v_add3_u32 v8, v84, v11, 1                                 // 00000000853C: D1FF0008 02061754
	v_cndmask_b32_e64 v4, v8, v10, s[60:61]                    // 000000008544: D1000004 00F21508
	v_cmp_u_f32_e64 s[60:61], v85, v85                         // 00000000854C: D048003C 0002AB55
	v_add3_u32 v8, v85, v11, 1                                 // 000000008554: D1FF0008 02061755
	v_cndmask_b32_e64 v5, v8, v10, s[60:61]                    // 00000000855C: D1000005 00F21508
	v_perm_b32 v106, v5, v4, s35                               // 000000008564: D1ED006A 008E0905
	v_cmp_u_f32_e64 s[60:61], v86, v86                         // 00000000856C: D048003C 0002AD56
	v_add3_u32 v8, v86, v11, 1                                 // 000000008574: D1FF0008 02061756
	v_cndmask_b32_e64 v4, v8, v10, s[60:61]                    // 00000000857C: D1000004 00F21508
	v_cmp_u_f32_e64 s[60:61], v87, v87                         // 000000008584: D048003C 0002AF57
	v_add3_u32 v8, v87, v11, 1                                 // 00000000858C: D1FF0008 02061757
	v_cndmask_b32_e64 v5, v8, v10, s[60:61]                    // 000000008594: D1000005 00F21508
	v_perm_b32 v107, v5, v4, s35                               // 00000000859C: D1ED006B 008E0905
	buffer_store_dwordx2 v[106:107], v21, s[16:19], 0 offen    // 0000000085A4: E0741000 80046A15

00000000000085ac <label_16EB>:
	s_waitcnt vmcnt(0) expcnt(0) lgkmcnt(0)                    // 0000000085AC: BF8C0000
	s_endpgm                                                   // 0000000085B0: BF810000
